;; amdgpu-corpus repo=ROCm/rocFFT kind=compiled arch=gfx950 opt=O3
	.text
	.amdgcn_target "amdgcn-amd-amdhsa--gfx950"
	.amdhsa_code_object_version 6
	.protected	fft_rtc_fwd_len1573_factors_13_11_11_wgs_143_tpt_143_sp_op_CI_CI_sbrr_dirReg ; -- Begin function fft_rtc_fwd_len1573_factors_13_11_11_wgs_143_tpt_143_sp_op_CI_CI_sbrr_dirReg
	.globl	fft_rtc_fwd_len1573_factors_13_11_11_wgs_143_tpt_143_sp_op_CI_CI_sbrr_dirReg
	.p2align	8
	.type	fft_rtc_fwd_len1573_factors_13_11_11_wgs_143_tpt_143_sp_op_CI_CI_sbrr_dirReg,@function
fft_rtc_fwd_len1573_factors_13_11_11_wgs_143_tpt_143_sp_op_CI_CI_sbrr_dirReg: ; @fft_rtc_fwd_len1573_factors_13_11_11_wgs_143_tpt_143_sp_op_CI_CI_sbrr_dirReg
; %bb.0:
	s_load_dwordx4 s[12:15], s[0:1], 0x18
	s_load_dwordx4 s[4:7], s[0:1], 0x0
	;; [unrolled: 1-line block ×3, first 2 shown]
	v_mul_u32_u24_e32 v1, 0x1cb, v0
	v_add_u32_sdwa v10, s2, v1 dst_sel:DWORD dst_unused:UNUSED_PAD src0_sel:DWORD src1_sel:WORD_1
	s_waitcnt lgkmcnt(0)
	s_load_dwordx2 s[18:19], s[12:13], 0x0
	s_load_dwordx2 s[16:17], s[14:15], 0x0
	v_mov_b32_e32 v8, 0
	v_cmp_lt_u64_e64 s[2:3], s[6:7], 2
	v_mov_b32_e32 v11, v8
	s_and_b64 vcc, exec, s[2:3]
	v_mov_b64_e32 v[2:3], 0
	s_cbranch_vccnz .LBB0_8
; %bb.1:
	s_load_dwordx2 s[2:3], s[0:1], 0x10
	s_add_u32 s20, s14, 8
	s_addc_u32 s21, s15, 0
	s_add_u32 s22, s12, 8
	s_addc_u32 s23, s13, 0
	s_waitcnt lgkmcnt(0)
	s_add_u32 s24, s2, 8
	v_mov_b64_e32 v[2:3], 0
	s_addc_u32 s25, s3, 0
	s_mov_b64 s[26:27], 1
	v_mov_b64_e32 v[4:5], v[2:3]
.LBB0_2:                                ; =>This Inner Loop Header: Depth=1
	s_load_dwordx2 s[28:29], s[24:25], 0x0
                                        ; implicit-def: $vgpr6_vgpr7
	s_waitcnt lgkmcnt(0)
	v_or_b32_e32 v9, s29, v11
	v_cmp_ne_u64_e32 vcc, 0, v[8:9]
	s_and_saveexec_b64 s[2:3], vcc
	s_xor_b64 s[30:31], exec, s[2:3]
	s_cbranch_execz .LBB0_4
; %bb.3:                                ;   in Loop: Header=BB0_2 Depth=1
	v_cvt_f32_u32_e32 v1, s28
	v_cvt_f32_u32_e32 v6, s29
	s_sub_u32 s2, 0, s28
	s_subb_u32 s3, 0, s29
	v_fmac_f32_e32 v1, 0x4f800000, v6
	v_rcp_f32_e32 v1, v1
	s_nop 0
	v_mul_f32_e32 v1, 0x5f7ffffc, v1
	v_mul_f32_e32 v6, 0x2f800000, v1
	v_trunc_f32_e32 v6, v6
	v_fmac_f32_e32 v1, 0xcf800000, v6
	v_cvt_u32_f32_e32 v9, v6
	v_cvt_u32_f32_e32 v1, v1
	v_mul_lo_u32 v6, s2, v9
	v_mul_hi_u32 v12, s2, v1
	v_mul_lo_u32 v7, s3, v1
	v_add_u32_e32 v12, v12, v6
	v_mul_lo_u32 v14, s2, v1
	v_add_u32_e32 v15, v12, v7
	v_mul_hi_u32 v6, v1, v14
	v_mul_hi_u32 v13, v1, v15
	v_mul_lo_u32 v12, v1, v15
	v_mov_b32_e32 v7, v8
	v_lshl_add_u64 v[6:7], v[6:7], 0, v[12:13]
	v_mul_hi_u32 v13, v9, v14
	v_mul_lo_u32 v14, v9, v14
	v_add_co_u32_e32 v6, vcc, v6, v14
	v_mul_hi_u32 v12, v9, v15
	s_nop 0
	v_addc_co_u32_e32 v6, vcc, v7, v13, vcc
	v_mov_b32_e32 v7, v8
	s_nop 0
	v_addc_co_u32_e32 v13, vcc, 0, v12, vcc
	v_mul_lo_u32 v12, v9, v15
	v_lshl_add_u64 v[6:7], v[6:7], 0, v[12:13]
	v_add_co_u32_e32 v1, vcc, v1, v6
	v_mul_lo_u32 v12, s2, v1
	s_nop 0
	v_addc_co_u32_e32 v9, vcc, v9, v7, vcc
	v_mul_lo_u32 v6, s2, v9
	v_mul_hi_u32 v7, s2, v1
	v_add_u32_e32 v6, v7, v6
	v_mul_lo_u32 v7, s3, v1
	v_add_u32_e32 v14, v6, v7
	v_mul_hi_u32 v16, v9, v12
	v_mul_lo_u32 v17, v9, v12
	v_mul_hi_u32 v7, v1, v14
	v_mul_lo_u32 v6, v1, v14
	v_mul_hi_u32 v12, v1, v12
	v_mov_b32_e32 v13, v8
	v_lshl_add_u64 v[6:7], v[12:13], 0, v[6:7]
	v_add_co_u32_e32 v6, vcc, v6, v17
	v_mul_hi_u32 v15, v9, v14
	s_nop 0
	v_addc_co_u32_e32 v6, vcc, v7, v16, vcc
	v_mul_lo_u32 v12, v9, v14
	s_nop 0
	v_addc_co_u32_e32 v13, vcc, 0, v15, vcc
	v_mov_b32_e32 v7, v8
	v_lshl_add_u64 v[6:7], v[6:7], 0, v[12:13]
	v_add_co_u32_e32 v1, vcc, v1, v6
	v_mul_hi_u32 v12, v10, v1
	s_nop 0
	v_addc_co_u32_e32 v9, vcc, v9, v7, vcc
	v_mad_u64_u32 v[6:7], s[2:3], v10, v9, 0
	v_mov_b32_e32 v13, v8
	v_lshl_add_u64 v[6:7], v[12:13], 0, v[6:7]
	v_mad_u64_u32 v[14:15], s[2:3], v11, v1, 0
	v_add_co_u32_e32 v1, vcc, v6, v14
	v_mad_u64_u32 v[12:13], s[2:3], v11, v9, 0
	s_nop 0
	v_addc_co_u32_e32 v6, vcc, v7, v15, vcc
	v_mov_b32_e32 v7, v8
	s_nop 0
	v_addc_co_u32_e32 v13, vcc, 0, v13, vcc
	v_lshl_add_u64 v[6:7], v[6:7], 0, v[12:13]
	v_mul_lo_u32 v1, s29, v6
	v_mul_lo_u32 v9, s28, v7
	v_mad_u64_u32 v[12:13], s[2:3], s28, v6, 0
	v_add3_u32 v1, v13, v9, v1
	v_sub_u32_e32 v9, v11, v1
	v_mov_b32_e32 v13, s29
	v_sub_co_u32_e32 v16, vcc, v10, v12
	v_lshl_add_u64 v[14:15], v[6:7], 0, 1
	s_nop 0
	v_subb_co_u32_e64 v9, s[2:3], v9, v13, vcc
	v_subrev_co_u32_e64 v12, s[2:3], s28, v16
	v_subb_co_u32_e32 v1, vcc, v11, v1, vcc
	s_nop 0
	v_subbrev_co_u32_e64 v9, s[2:3], 0, v9, s[2:3]
	v_cmp_le_u32_e64 s[2:3], s29, v9
	v_cmp_le_u32_e32 vcc, s29, v1
	s_nop 0
	v_cndmask_b32_e64 v13, 0, -1, s[2:3]
	v_cmp_le_u32_e64 s[2:3], s28, v12
	s_nop 1
	v_cndmask_b32_e64 v12, 0, -1, s[2:3]
	v_cmp_eq_u32_e64 s[2:3], s29, v9
	s_nop 1
	v_cndmask_b32_e64 v9, v13, v12, s[2:3]
	v_lshl_add_u64 v[12:13], v[6:7], 0, 2
	v_cmp_ne_u32_e64 s[2:3], 0, v9
	s_nop 1
	v_cndmask_b32_e64 v9, v15, v13, s[2:3]
	v_cndmask_b32_e64 v13, 0, -1, vcc
	v_cmp_le_u32_e32 vcc, s28, v16
	s_nop 1
	v_cndmask_b32_e64 v15, 0, -1, vcc
	v_cmp_eq_u32_e32 vcc, s29, v1
	s_nop 1
	v_cndmask_b32_e32 v1, v13, v15, vcc
	v_cmp_ne_u32_e32 vcc, 0, v1
	v_cndmask_b32_e64 v1, v14, v12, s[2:3]
	s_nop 0
	v_cndmask_b32_e32 v7, v7, v9, vcc
	v_cndmask_b32_e32 v6, v6, v1, vcc
.LBB0_4:                                ;   in Loop: Header=BB0_2 Depth=1
	s_andn2_saveexec_b64 s[2:3], s[30:31]
	s_cbranch_execz .LBB0_6
; %bb.5:                                ;   in Loop: Header=BB0_2 Depth=1
	v_cvt_f32_u32_e32 v1, s28
	s_sub_i32 s30, 0, s28
	v_rcp_iflag_f32_e32 v1, v1
	s_nop 0
	v_mul_f32_e32 v1, 0x4f7ffffe, v1
	v_cvt_u32_f32_e32 v1, v1
	v_mul_lo_u32 v6, s30, v1
	v_mul_hi_u32 v6, v1, v6
	v_add_u32_e32 v1, v1, v6
	v_mul_hi_u32 v1, v10, v1
	v_mul_lo_u32 v6, v1, s28
	v_sub_u32_e32 v6, v10, v6
	v_add_u32_e32 v7, 1, v1
	v_subrev_u32_e32 v9, s28, v6
	v_cmp_le_u32_e32 vcc, s28, v6
	s_nop 1
	v_cndmask_b32_e32 v6, v6, v9, vcc
	v_cndmask_b32_e32 v1, v1, v7, vcc
	v_add_u32_e32 v7, 1, v1
	v_cmp_le_u32_e32 vcc, s28, v6
	s_nop 1
	v_cndmask_b32_e32 v6, v1, v7, vcc
	v_mov_b32_e32 v7, v8
.LBB0_6:                                ;   in Loop: Header=BB0_2 Depth=1
	s_or_b64 exec, exec, s[2:3]
	v_mad_u64_u32 v[12:13], s[2:3], v6, s28, 0
	s_load_dwordx2 s[2:3], s[22:23], 0x0
	v_mul_lo_u32 v1, v7, s28
	v_mul_lo_u32 v9, v6, s29
	s_load_dwordx2 s[28:29], s[20:21], 0x0
	s_add_u32 s26, s26, 1
	v_add3_u32 v1, v13, v9, v1
	v_sub_co_u32_e32 v9, vcc, v10, v12
	s_addc_u32 s27, s27, 0
	s_nop 0
	v_subb_co_u32_e32 v1, vcc, v11, v1, vcc
	s_add_u32 s20, s20, 8
	s_waitcnt lgkmcnt(0)
	v_mul_lo_u32 v10, s2, v1
	v_mul_lo_u32 v11, s3, v9
	v_mad_u64_u32 v[2:3], s[2:3], s2, v9, v[2:3]
	s_addc_u32 s21, s21, 0
	v_add3_u32 v3, v11, v3, v10
	v_mul_lo_u32 v1, s28, v1
	v_mul_lo_u32 v10, s29, v9
	v_mad_u64_u32 v[4:5], s[2:3], s28, v9, v[4:5]
	s_add_u32 s22, s22, 8
	v_add3_u32 v5, v10, v5, v1
	s_addc_u32 s23, s23, 0
	v_mov_b64_e32 v[10:11], s[6:7]
	s_add_u32 s24, s24, 8
	v_cmp_ge_u64_e32 vcc, s[26:27], v[10:11]
	s_addc_u32 s25, s25, 0
	s_cbranch_vccnz .LBB0_9
; %bb.7:                                ;   in Loop: Header=BB0_2 Depth=1
	v_mov_b64_e32 v[10:11], v[6:7]
	s_branch .LBB0_2
.LBB0_8:
	v_mov_b64_e32 v[4:5], v[2:3]
	v_mov_b64_e32 v[6:7], v[10:11]
.LBB0_9:
	s_load_dwordx2 s[0:1], s[0:1], 0x28
	s_lshl_b64 s[20:21], s[6:7], 3
	s_add_u32 s2, s14, s20
	s_addc_u32 s3, s15, s21
	s_load_dwordx2 s[2:3], s[2:3], 0x0
	s_waitcnt lgkmcnt(0)
	v_cmp_gt_u64_e32 vcc, s[0:1], v[6:7]
	s_mov_b32 s0, 0x1ca4b31
	v_mul_hi_u32 v1, v0, s0
	v_mul_u32_u24_e32 v1, 0x8f, v1
	v_sub_u32_e32 v74, v0, v1
	v_mov_b32_e32 v75, 0
	v_mov_b32_e32 v0, 0
	;; [unrolled: 1-line block ×3, first 2 shown]
                                        ; implicit-def: $vgpr30
                                        ; implicit-def: $vgpr28
                                        ; implicit-def: $vgpr26
                                        ; implicit-def: $vgpr24
                                        ; implicit-def: $vgpr22
                                        ; implicit-def: $vgpr8
                                        ; implicit-def: $vgpr20
                                        ; implicit-def: $vgpr16
                                        ; implicit-def: $vgpr14
                                        ; implicit-def: $vgpr18
                                        ; implicit-def: $vgpr12
                                        ; implicit-def: $vgpr10
	s_and_saveexec_b64 s[6:7], vcc
	s_cbranch_execz .LBB0_13
; %bb.10:
	s_movk_i32 s0, 0x79
	v_cmp_gt_u32_e64 s[0:1], s0, v74
	v_mov_b32_e32 v1, 0
	v_mov_b32_e32 v0, 0
                                        ; implicit-def: $vgpr11
                                        ; implicit-def: $vgpr13
                                        ; implicit-def: $vgpr19
                                        ; implicit-def: $vgpr15
                                        ; implicit-def: $vgpr17
                                        ; implicit-def: $vgpr21
                                        ; implicit-def: $vgpr9
                                        ; implicit-def: $vgpr23
                                        ; implicit-def: $vgpr25
                                        ; implicit-def: $vgpr27
                                        ; implicit-def: $vgpr29
                                        ; implicit-def: $vgpr31
	s_and_saveexec_b64 s[14:15], s[0:1]
	s_cbranch_execz .LBB0_12
; %bb.11:
	s_add_u32 s0, s12, s20
	s_addc_u32 s1, s13, s21
	s_load_dwordx2 s[0:1], s[0:1], 0x0
	s_waitcnt lgkmcnt(0)
	v_mul_lo_u32 v8, s1, v6
	v_mul_lo_u32 v9, s0, v7
	v_mad_u64_u32 v[0:1], s[0:1], s0, v6, 0
	v_add3_u32 v1, v1, v9, v8
	v_mad_u64_u32 v[8:9], s[0:1], s18, v74, 0
	v_mov_b32_e32 v10, v9
	v_mad_u64_u32 v[10:11], s[0:1], s19, v74, v[10:11]
	v_lshl_add_u64 v[0:1], v[0:1], 3, s[8:9]
	v_mov_b32_e32 v9, v10
	v_lshl_add_u64 v[2:3], v[2:3], 3, v[0:1]
	v_lshl_add_u64 v[14:15], v[8:9], 3, v[2:3]
	v_add_u32_e32 v9, 0x79, v74
	v_mad_u64_u32 v[0:1], s[0:1], s18, v9, 0
	v_mov_b32_e32 v8, v1
	v_mad_u64_u32 v[8:9], s[0:1], s19, v9, v[8:9]
	v_mov_b32_e32 v1, v8
	v_add_u32_e32 v9, 0xf2, v74
	v_lshl_add_u64 v[16:17], v[0:1], 3, v[2:3]
	v_mad_u64_u32 v[0:1], s[0:1], s18, v9, 0
	v_mov_b32_e32 v8, v1
	v_mad_u64_u32 v[8:9], s[0:1], s19, v9, v[8:9]
	v_mov_b32_e32 v1, v8
	v_add_u32_e32 v9, 0x16b, v74
	v_lshl_add_u64 v[18:19], v[0:1], 3, v[2:3]
	v_mad_u64_u32 v[0:1], s[0:1], s18, v9, 0
	v_mov_b32_e32 v8, v1
	v_mad_u64_u32 v[8:9], s[0:1], s19, v9, v[8:9]
	v_mov_b32_e32 v1, v8
	v_lshl_add_u64 v[20:21], v[0:1], 3, v[2:3]
	global_load_dwordx2 v[0:1], v[14:15], off
	global_load_dwordx2 v[12:13], v[16:17], off
	;; [unrolled: 1-line block ×4, first 2 shown]
	v_add_u32_e32 v17, 0x1e4, v74
	v_mad_u64_u32 v[14:15], s[0:1], s18, v17, 0
	v_mov_b32_e32 v16, v15
	v_mad_u64_u32 v[16:17], s[0:1], s19, v17, v[16:17]
	v_mov_b32_e32 v15, v16
	v_add_u32_e32 v17, 0x25d, v74
	v_lshl_add_u64 v[32:33], v[14:15], 3, v[2:3]
	v_mad_u64_u32 v[14:15], s[0:1], s18, v17, 0
	v_mov_b32_e32 v16, v15
	v_mad_u64_u32 v[16:17], s[0:1], s19, v17, v[16:17]
	v_mov_b32_e32 v15, v16
	v_add_u32_e32 v17, 0x2d6, v74
	v_lshl_add_u64 v[34:35], v[14:15], 3, v[2:3]
	;; [unrolled: 6-line block ×8, first 2 shown]
	v_mad_u64_u32 v[14:15], s[0:1], s18, v17, 0
	v_mov_b32_e32 v16, v15
	v_mad_u64_u32 v[16:17], s[0:1], s19, v17, v[16:17]
	v_mov_b32_e32 v15, v16
	v_lshl_add_u64 v[2:3], v[14:15], 3, v[2:3]
	global_load_dwordx2 v[20:21], v[32:33], off
	global_load_dwordx2 v[16:17], v[34:35], off
	;; [unrolled: 1-line block ×9, first 2 shown]
.LBB0_12:
	s_or_b64 exec, exec, s[14:15]
	v_mov_b32_e32 v75, v74
.LBB0_13:
	s_or_b64 exec, exec, s[6:7]
	s_movk_i32 s0, 0x79
	v_cmp_gt_u32_e64 s[0:1], s0, v74
	s_and_saveexec_b64 s[6:7], s[0:1]
	s_cbranch_execz .LBB0_15
; %bb.14:
	s_waitcnt vmcnt(11)
	v_pk_add_f32 v[2:3], v[0:1], v[12:13]
	s_movk_i32 s0, 0x68
	s_waitcnt vmcnt(10)
	v_pk_add_f32 v[2:3], v[2:3], v[10:11]
	v_mad_u32_u24 v158, v74, s0, 0
	s_waitcnt vmcnt(9)
	v_pk_add_f32 v[2:3], v[2:3], v[8:9]
	s_waitcnt vmcnt(0)
	v_pk_add_f32 v[76:77], v[12:13], v[30:31] neg_lo:[0,1] neg_hi:[0,1]
	v_pk_add_f32 v[2:3], v[2:3], v[20:21]
	s_mov_b32 s0, 0xbeedf032
	v_pk_add_f32 v[2:3], v[2:3], v[16:17]
	v_pk_add_f32 v[78:79], v[12:13], v[30:31]
	;; [unrolled: 1-line block ×3, first 2 shown]
	v_pk_add_f32 v[68:69], v[8:9], v[26:27] neg_lo:[0,1] neg_hi:[0,1]
	v_pk_add_f32 v[2:3], v[2:3], v[18:19]
	v_pk_add_f32 v[66:67], v[8:9], v[26:27]
	;; [unrolled: 1-line block ×3, first 2 shown]
	s_mov_b32 s12, 0x3f62ad3f
	v_pk_add_f32 v[2:3], v[24:25], v[2:3]
	v_pk_mul_f32 v[8:9], v[76:77], s[0:1] op_sel_hi:[1,0]
	v_pk_add_f32 v[2:3], v[26:27], v[2:3]
	v_pk_add_f32 v[72:73], v[10:11], v[28:29] neg_lo:[0,1] neg_hi:[0,1]
	v_pk_add_f32 v[2:3], v[28:29], v[2:3]
	s_mov_b32 s24, 0xbf52af12
	v_pk_add_f32 v[32:33], v[30:31], v[2:3]
	v_pk_fma_f32 v[2:3], v[78:79], s[12:13], v[8:9] op_sel:[0,0,1] op_sel_hi:[1,0,0] neg_lo:[0,0,1] neg_hi:[0,0,1]
	v_pk_fma_f32 v[8:9], v[78:79], s[12:13], v[8:9] op_sel:[0,0,1] op_sel_hi:[1,0,0]
	v_pk_add_f32 v[70:71], v[10:11], v[28:29]
	v_mov_b32_e32 v10, v2
	v_mov_b32_e32 v11, v9
	s_mov_b32 s8, 0x3f116cb1
	v_pk_mul_f32 v[12:13], v[72:73], s[24:25] op_sel_hi:[1,0]
	v_pk_add_f32 v[56:57], v[14:15], v[18:19] neg_lo:[0,1] neg_hi:[0,1]
	v_pk_add_f32 v[54:55], v[14:15], v[18:19]
	v_pk_add_f32 v[14:15], v[0:1], v[10:11]
	v_pk_fma_f32 v[10:11], v[70:71], s[8:9], v[12:13] op_sel:[0,0,1] op_sel_hi:[1,0,0] neg_lo:[0,0,1] neg_hi:[0,0,1]
	v_pk_fma_f32 v[12:13], v[70:71], s[8:9], v[12:13] op_sel:[0,0,1] op_sel_hi:[1,0,0]
	v_pk_add_f32 v[60:61], v[16:17], v[22:23] neg_lo:[0,1] neg_hi:[0,1]
	v_pk_add_f32 v[58:59], v[16:17], v[22:23]
	v_mov_b32_e32 v16, v10
	v_mov_b32_e32 v17, v13
	s_mov_b32 s34, 0xbf7e222b
	v_pk_add_f32 v[18:19], v[14:15], v[16:17]
	s_mov_b32 s0, 0x3df6dbef
	v_pk_mul_f32 v[16:17], v[68:69], s[34:35] op_sel_hi:[1,0]
	v_pk_add_f32 v[64:65], v[20:21], v[24:25] neg_lo:[0,1] neg_hi:[0,1]
	v_pk_fma_f32 v[14:15], v[66:67], s[0:1], v[16:17] op_sel:[0,0,1] op_sel_hi:[1,0,0] neg_lo:[0,0,1] neg_hi:[0,0,1]
	v_pk_fma_f32 v[16:17], v[66:67], s[0:1], v[16:17] op_sel:[0,0,1] op_sel_hi:[1,0,0]
	v_pk_add_f32 v[62:63], v[20:21], v[24:25]
	v_mov_b32_e32 v20, v14
	v_mov_b32_e32 v21, v17
	s_mov_b32 s18, 0xbf6f5d39
	v_pk_add_f32 v[22:23], v[18:19], v[20:21]
	s_mov_b32 s14, 0xbeb58ec6
	v_pk_mul_f32 v[20:21], v[64:65], s[18:19] op_sel_hi:[1,0]
	s_mov_b32 s22, 0xbf29c268
	v_pk_fma_f32 v[18:19], v[62:63], s[14:15], v[20:21] op_sel:[0,0,1] op_sel_hi:[1,0,0] neg_lo:[0,0,1] neg_hi:[0,0,1]
	v_pk_fma_f32 v[20:21], v[62:63], s[14:15], v[20:21] op_sel:[0,0,1] op_sel_hi:[1,0,0]
	v_mov_b32_e32 v24, v18
	v_mov_b32_e32 v25, v21
	v_pk_add_f32 v[26:27], v[22:23], v[24:25]
	s_mov_b32 s20, 0xbf3f9e67
	v_pk_mul_f32 v[24:25], v[60:61], s[22:23] op_sel_hi:[1,0]
	s_mov_b32 s28, 0xbe750f2a
	v_pk_fma_f32 v[22:23], v[58:59], s[20:21], v[24:25] op_sel:[0,0,1] op_sel_hi:[1,0,0] neg_lo:[0,0,1] neg_hi:[0,0,1]
	v_pk_fma_f32 v[24:25], v[58:59], s[20:21], v[24:25] op_sel:[0,0,1] op_sel_hi:[1,0,0]
	v_mov_b32_e32 v28, v22
	v_mov_b32_e32 v29, v25
	v_pk_add_f32 v[30:31], v[26:27], v[28:29]
	s_mov_b32 s26, 0xbf788fa5
	v_pk_mul_f32 v[28:29], v[56:57], s[28:29] op_sel_hi:[1,0]
	v_pk_mul_f32 v[36:37], v[72:73], s[18:19] op_sel_hi:[1,0]
	v_pk_fma_f32 v[26:27], v[54:55], s[26:27], v[28:29] op_sel:[0,0,1] op_sel_hi:[1,0,0] neg_lo:[0,0,1] neg_hi:[0,0,1]
	v_pk_fma_f32 v[28:29], v[54:55], s[26:27], v[28:29] op_sel:[0,0,1] op_sel_hi:[1,0,0]
	v_mov_b32_e32 v34, v26
	v_mov_b32_e32 v35, v29
	v_pk_add_f32 v[30:31], v[30:31], v[34:35]
	ds_write2_b64 v158, v[32:33], v[30:31] offset1:1
	v_pk_mul_f32 v[32:33], v[76:77], s[24:25] op_sel_hi:[1,0]
	s_mov_b32 s38, 0x3f29c268
	v_pk_fma_f32 v[30:31], v[78:79], s[8:9], v[32:33] op_sel:[0,0,1] op_sel_hi:[1,0,0] neg_lo:[0,0,1] neg_hi:[0,0,1]
	v_pk_fma_f32 v[32:33], v[78:79], s[8:9], v[32:33] op_sel:[0,0,1] op_sel_hi:[1,0,0]
	v_mov_b32_e32 v34, v30
	v_mov_b32_e32 v35, v33
	v_pk_add_f32 v[38:39], v[0:1], v[34:35]
	v_pk_fma_f32 v[34:35], v[70:71], s[14:15], v[36:37] op_sel:[0,0,1] op_sel_hi:[1,0,0] neg_lo:[0,0,1] neg_hi:[0,0,1]
	v_pk_fma_f32 v[36:37], v[70:71], s[14:15], v[36:37] op_sel:[0,0,1] op_sel_hi:[1,0,0]
	v_mov_b32_e32 v40, v34
	v_mov_b32_e32 v41, v37
	v_pk_add_f32 v[42:43], v[38:39], v[40:41]
	v_pk_mul_f32 v[40:41], v[68:69], s[28:29] op_sel_hi:[1,0]
	s_mov_b32 s30, 0x3f7e222b
	v_pk_fma_f32 v[38:39], v[66:67], s[26:27], v[40:41] op_sel:[0,0,1] op_sel_hi:[1,0,0] neg_lo:[0,0,1] neg_hi:[0,0,1]
	v_pk_fma_f32 v[40:41], v[66:67], s[26:27], v[40:41] op_sel:[0,0,1] op_sel_hi:[1,0,0]
	v_mov_b32_e32 v44, v38
	v_mov_b32_e32 v45, v41
	v_pk_add_f32 v[46:47], v[42:43], v[44:45]
	v_pk_mul_f32 v[44:45], v[64:65], s[38:39] op_sel_hi:[1,0]
	s_mov_b32 s36, 0x3eedf032
	v_pk_fma_f32 v[42:43], v[62:63], s[20:21], v[44:45] op_sel:[0,0,1] op_sel_hi:[1,0,0] neg_lo:[0,0,1] neg_hi:[0,0,1]
	v_pk_fma_f32 v[44:45], v[62:63], s[20:21], v[44:45] op_sel:[0,0,1] op_sel_hi:[1,0,0]
	v_mov_b32_e32 v48, v42
	v_mov_b32_e32 v49, v45
	v_pk_add_f32 v[50:51], v[46:47], v[48:49]
	v_pk_mul_f32 v[48:49], v[60:61], s[30:31] op_sel_hi:[1,0]
	v_pk_mul_f32 v[88:89], v[72:73], s[28:29] op_sel_hi:[1,0]
	v_pk_fma_f32 v[46:47], v[58:59], s[0:1], v[48:49] op_sel:[0,0,1] op_sel_hi:[1,0,0] neg_lo:[0,0,1] neg_hi:[0,0,1]
	v_pk_fma_f32 v[48:49], v[58:59], s[0:1], v[48:49] op_sel:[0,0,1] op_sel_hi:[1,0,0]
	v_mov_b32_e32 v52, v46
	v_mov_b32_e32 v53, v49
	v_pk_add_f32 v[80:81], v[50:51], v[52:53]
	v_pk_mul_f32 v[52:53], v[56:57], s[36:37] op_sel_hi:[1,0]
	v_pk_fma_f32 v[90:91], v[70:71], s[26:27], v[88:89] op_sel:[0,0,1] op_sel_hi:[1,0,0] neg_lo:[0,0,1] neg_hi:[0,0,1]
	v_pk_fma_f32 v[50:51], v[54:55], s[12:13], v[52:53] op_sel:[0,0,1] op_sel_hi:[1,0,0] neg_lo:[0,0,1] neg_hi:[0,0,1]
	v_pk_fma_f32 v[52:53], v[54:55], s[12:13], v[52:53] op_sel:[0,0,1] op_sel_hi:[1,0,0]
	v_mov_b32_e32 v82, v50
	v_mov_b32_e32 v83, v53
	v_pk_add_f32 v[80:81], v[80:81], v[82:83]
	v_pk_mul_f32 v[82:83], v[76:77], s[34:35] op_sel_hi:[1,0]
	v_pk_fma_f32 v[88:89], v[70:71], s[26:27], v[88:89] op_sel:[0,0,1] op_sel_hi:[1,0,0]
	v_pk_fma_f32 v[84:85], v[78:79], s[0:1], v[82:83] op_sel:[0,0,1] op_sel_hi:[1,0,0] neg_lo:[0,0,1] neg_hi:[0,0,1]
	v_pk_fma_f32 v[82:83], v[78:79], s[0:1], v[82:83] op_sel:[0,0,1] op_sel_hi:[1,0,0]
	v_mov_b32_e32 v86, v84
	v_mov_b32_e32 v87, v83
	v_pk_add_f32 v[86:87], v[0:1], v[86:87]
	v_mov_b32_e32 v92, v90
	v_mov_b32_e32 v93, v89
	s_mov_b32 s40, 0x3f6f5d39
	v_pk_add_f32 v[86:87], v[86:87], v[92:93]
	v_pk_mul_f32 v[92:93], v[68:69], s[40:41] op_sel_hi:[1,0]
	v_pk_mul_f32 v[110:111], v[72:73], s[38:39] op_sel_hi:[1,0]
	v_pk_fma_f32 v[94:95], v[66:67], s[14:15], v[92:93] op_sel:[0,0,1] op_sel_hi:[1,0,0] neg_lo:[0,0,1] neg_hi:[0,0,1]
	v_pk_fma_f32 v[92:93], v[66:67], s[14:15], v[92:93] op_sel:[0,0,1] op_sel_hi:[1,0,0]
	v_mov_b32_e32 v96, v94
	v_mov_b32_e32 v97, v93
	v_pk_add_f32 v[86:87], v[86:87], v[96:97]
	v_pk_mul_f32 v[96:97], v[64:65], s[36:37] op_sel_hi:[1,0]
	v_pk_fma_f32 v[112:113], v[70:71], s[20:21], v[110:111] op_sel:[0,0,1] op_sel_hi:[1,0,0] neg_lo:[0,0,1] neg_hi:[0,0,1]
	v_pk_fma_f32 v[98:99], v[62:63], s[12:13], v[96:97] op_sel:[0,0,1] op_sel_hi:[1,0,0] neg_lo:[0,0,1] neg_hi:[0,0,1]
	v_pk_fma_f32 v[96:97], v[62:63], s[12:13], v[96:97] op_sel:[0,0,1] op_sel_hi:[1,0,0]
	v_mov_b32_e32 v100, v98
	v_mov_b32_e32 v101, v97
	v_pk_add_f32 v[86:87], v[86:87], v[100:101]
	v_pk_mul_f32 v[100:101], v[60:61], s[24:25] op_sel_hi:[1,0]
	v_pk_fma_f32 v[110:111], v[70:71], s[20:21], v[110:111] op_sel:[0,0,1] op_sel_hi:[1,0,0]
	v_pk_fma_f32 v[102:103], v[58:59], s[8:9], v[100:101] op_sel:[0,0,1] op_sel_hi:[1,0,0] neg_lo:[0,0,1] neg_hi:[0,0,1]
	v_pk_fma_f32 v[100:101], v[58:59], s[8:9], v[100:101] op_sel:[0,0,1] op_sel_hi:[1,0,0]
	v_mov_b32_e32 v104, v102
	v_mov_b32_e32 v105, v101
	v_pk_add_f32 v[86:87], v[86:87], v[104:105]
	v_pk_mul_f32 v[104:105], v[56:57], s[22:23] op_sel_hi:[1,0]
	v_mov_b32_e32 v114, v112
	v_pk_fma_f32 v[106:107], v[54:55], s[20:21], v[104:105] op_sel:[0,0,1] op_sel_hi:[1,0,0] neg_lo:[0,0,1] neg_hi:[0,0,1]
	v_pk_fma_f32 v[104:105], v[54:55], s[20:21], v[104:105] op_sel:[0,0,1] op_sel_hi:[1,0,0]
	v_mov_b32_e32 v108, v106
	v_mov_b32_e32 v109, v105
	v_pk_add_f32 v[86:87], v[86:87], v[108:109]
	ds_write2_b64 v158, v[80:81], v[86:87] offset0:2 offset1:3
	v_pk_mul_f32 v[80:81], v[76:77], s[18:19] op_sel_hi:[1,0]
	v_mov_b32_e32 v115, v111
	v_pk_fma_f32 v[86:87], v[78:79], s[14:15], v[80:81] op_sel:[0,0,1] op_sel_hi:[1,0,0] neg_lo:[0,0,1] neg_hi:[0,0,1]
	v_pk_fma_f32 v[80:81], v[78:79], s[14:15], v[80:81] op_sel:[0,0,1] op_sel_hi:[1,0,0]
	v_mov_b32_e32 v108, v86
	v_mov_b32_e32 v109, v81
	v_pk_add_f32 v[108:109], v[0:1], v[108:109]
	s_mov_b32 s38, 0x3f52af12
	v_pk_add_f32 v[108:109], v[108:109], v[114:115]
	v_pk_mul_f32 v[114:115], v[68:69], s[36:37] op_sel_hi:[1,0]
	v_pk_mul_f32 v[136:137], v[72:73], s[30:31] op_sel_hi:[1,0]
	v_pk_fma_f32 v[116:117], v[66:67], s[12:13], v[114:115] op_sel:[0,0,1] op_sel_hi:[1,0,0] neg_lo:[0,0,1] neg_hi:[0,0,1]
	v_pk_fma_f32 v[114:115], v[66:67], s[12:13], v[114:115] op_sel:[0,0,1] op_sel_hi:[1,0,0]
	v_mov_b32_e32 v118, v116
	v_mov_b32_e32 v119, v115
	v_pk_add_f32 v[108:109], v[108:109], v[118:119]
	v_pk_mul_f32 v[118:119], v[64:65], s[34:35] op_sel_hi:[1,0]
	s_mov_b32 s34, 0x3e750f2a
	v_pk_fma_f32 v[120:121], v[62:63], s[0:1], v[118:119] op_sel:[0,0,1] op_sel_hi:[1,0,0] neg_lo:[0,0,1] neg_hi:[0,0,1]
	v_pk_fma_f32 v[118:119], v[62:63], s[0:1], v[118:119] op_sel:[0,0,1] op_sel_hi:[1,0,0]
	v_mov_b32_e32 v122, v120
	v_mov_b32_e32 v123, v119
	v_pk_add_f32 v[108:109], v[108:109], v[122:123]
	v_pk_mul_f32 v[122:123], v[60:61], s[34:35] op_sel_hi:[1,0]
	v_pk_fma_f32 v[138:139], v[70:71], s[0:1], v[136:137] op_sel:[0,0,1] op_sel_hi:[1,0,0] neg_lo:[0,0,1] neg_hi:[0,0,1]
	v_pk_fma_f32 v[124:125], v[58:59], s[26:27], v[122:123] op_sel:[0,0,1] op_sel_hi:[1,0,0] neg_lo:[0,0,1] neg_hi:[0,0,1]
	v_pk_fma_f32 v[122:123], v[58:59], s[26:27], v[122:123] op_sel:[0,0,1] op_sel_hi:[1,0,0]
	v_mov_b32_e32 v126, v124
	v_mov_b32_e32 v127, v123
	v_pk_add_f32 v[108:109], v[108:109], v[126:127]
	v_pk_mul_f32 v[126:127], v[56:57], s[38:39] op_sel_hi:[1,0]
	v_pk_fma_f32 v[136:137], v[70:71], s[0:1], v[136:137] op_sel:[0,0,1] op_sel_hi:[1,0,0]
	v_pk_fma_f32 v[128:129], v[54:55], s[8:9], v[126:127] op_sel:[0,0,1] op_sel_hi:[1,0,0] neg_lo:[0,0,1] neg_hi:[0,0,1]
	v_pk_fma_f32 v[126:127], v[54:55], s[8:9], v[126:127] op_sel:[0,0,1] op_sel_hi:[1,0,0]
	v_mov_b32_e32 v130, v128
	v_mov_b32_e32 v131, v127
	v_pk_add_f32 v[108:109], v[108:109], v[130:131]
	v_pk_mul_f32 v[130:131], v[76:77], s[22:23] op_sel_hi:[1,0]
	v_mov_b32_e32 v140, v138
	v_pk_fma_f32 v[132:133], v[78:79], s[20:21], v[130:131] op_sel:[0,0,1] op_sel_hi:[1,0,0] neg_lo:[0,0,1] neg_hi:[0,0,1]
	v_pk_fma_f32 v[130:131], v[78:79], s[20:21], v[130:131] op_sel:[0,0,1] op_sel_hi:[1,0,0]
	v_mov_b32_e32 v134, v132
	v_mov_b32_e32 v135, v131
	v_pk_add_f32 v[134:135], v[0:1], v[134:135]
	v_mov_b32_e32 v141, v137
	v_pk_add_f32 v[134:135], v[134:135], v[140:141]
	v_pk_mul_f32 v[140:141], v[68:69], s[24:25] op_sel_hi:[1,0]
	v_pk_mul_f32 v[76:77], v[76:77], s[28:29] op_sel_hi:[1,0]
	v_pk_fma_f32 v[142:143], v[66:67], s[8:9], v[140:141] op_sel:[0,0,1] op_sel_hi:[1,0,0] neg_lo:[0,0,1] neg_hi:[0,0,1]
	v_pk_fma_f32 v[140:141], v[66:67], s[8:9], v[140:141] op_sel:[0,0,1] op_sel_hi:[1,0,0]
	v_mov_b32_e32 v144, v142
	v_mov_b32_e32 v145, v141
	v_pk_add_f32 v[134:135], v[134:135], v[144:145]
	v_pk_mul_f32 v[144:145], v[64:65], s[34:35] op_sel_hi:[1,0]
	v_pk_mul_f32 v[72:73], v[72:73], s[36:37] op_sel_hi:[1,0]
	v_pk_fma_f32 v[146:147], v[62:63], s[26:27], v[144:145] op_sel:[0,0,1] op_sel_hi:[1,0,0] neg_lo:[0,0,1] neg_hi:[0,0,1]
	v_pk_fma_f32 v[144:145], v[62:63], s[26:27], v[144:145] op_sel:[0,0,1] op_sel_hi:[1,0,0]
	v_mov_b32_e32 v148, v146
	;; [unrolled: 7-line block ×4, first 2 shown]
	v_mov_b32_e32 v157, v153
	v_pk_add_f32 v[134:135], v[134:135], v[156:157]
	ds_write2_b64 v158, v[108:109], v[134:135] offset0:4 offset1:5
	v_pk_fma_f32 v[108:109], v[78:79], s[26:27], v[76:77] op_sel:[0,0,1] op_sel_hi:[1,0,0] neg_lo:[0,0,1] neg_hi:[0,0,1]
	v_pk_fma_f32 v[76:77], v[78:79], s[26:27], v[76:77] op_sel:[0,0,1] op_sel_hi:[1,0,0]
	v_pk_fma_f32 v[78:79], v[70:71], s[12:13], v[72:73] op_sel:[0,0,1] op_sel_hi:[1,0,0] neg_lo:[0,0,1] neg_hi:[0,0,1]
	v_pk_fma_f32 v[70:71], v[70:71], s[12:13], v[72:73] op_sel:[0,0,1] op_sel_hi:[1,0,0]
	v_mov_b32_e32 v72, v108
	v_mov_b32_e32 v73, v77
	v_pk_add_f32 v[72:73], v[0:1], v[72:73]
	v_mov_b32_e32 v134, v78
	v_mov_b32_e32 v135, v71
	v_pk_add_f32 v[72:73], v[72:73], v[134:135]
	v_pk_fma_f32 v[134:135], v[66:67], s[20:21], v[68:69] op_sel:[0,0,1] op_sel_hi:[1,0,0] neg_lo:[0,0,1] neg_hi:[0,0,1]
	v_pk_fma_f32 v[66:67], v[66:67], s[20:21], v[68:69] op_sel:[0,0,1] op_sel_hi:[1,0,0]
	v_mov_b32_e32 v68, v134
	v_mov_b32_e32 v69, v67
	v_pk_add_f32 v[68:69], v[72:73], v[68:69]
	v_pk_fma_f32 v[72:73], v[62:63], s[8:9], v[64:65] op_sel:[0,0,1] op_sel_hi:[1,0,0] neg_lo:[0,0,1] neg_hi:[0,0,1]
	v_pk_fma_f32 v[62:63], v[62:63], s[8:9], v[64:65] op_sel:[0,0,1] op_sel_hi:[1,0,0]
	v_mov_b32_e32 v64, v72
	v_mov_b32_e32 v65, v63
	v_pk_mul_f32 v[60:61], v[60:61], s[18:19] op_sel_hi:[1,0]
	v_pk_add_f32 v[64:65], v[68:69], v[64:65]
	v_pk_fma_f32 v[68:69], v[58:59], s[14:15], v[60:61] op_sel:[0,0,1] op_sel_hi:[1,0,0] neg_lo:[0,0,1] neg_hi:[0,0,1]
	v_pk_fma_f32 v[58:59], v[58:59], s[14:15], v[60:61] op_sel:[0,0,1] op_sel_hi:[1,0,0]
	v_mov_b32_e32 v60, v68
	v_mov_b32_e32 v61, v59
	v_pk_mul_f32 v[56:57], v[56:57], s[30:31] op_sel_hi:[1,0]
	v_pk_add_f32 v[60:61], v[64:65], v[60:61]
	v_pk_fma_f32 v[64:65], v[54:55], s[0:1], v[56:57] op_sel:[0,0,1] op_sel_hi:[1,0,0] neg_lo:[0,0,1] neg_hi:[0,0,1]
	v_pk_fma_f32 v[54:55], v[54:55], s[0:1], v[56:57] op_sel:[0,0,1] op_sel_hi:[1,0,0]
	v_mov_b32_e32 v56, v64
	v_mov_b32_e32 v57, v55
	;; [unrolled: 1-line block ×3, first 2 shown]
	v_pk_add_f32 v[56:57], v[60:61], v[56:57]
	v_mov_b32_e32 v71, v79
	v_pk_add_f32 v[60:61], v[0:1], v[76:77]
	v_mov_b32_e32 v67, v135
	;; [unrolled: 2-line block ×7, first 2 shown]
	ds_write2_b64 v158, v[56:57], v[54:55] offset0:6 offset1:7
	v_mov_b32_e32 v137, v139
	v_pk_add_f32 v[54:55], v[0:1], v[130:131]
	v_mov_b32_e32 v111, v113
	v_pk_add_f32 v[56:57], v[0:1], v[80:81]
	v_pk_add_f32 v[54:55], v[54:55], v[136:137]
	v_mov_b32_e32 v141, v143
	v_pk_add_f32 v[56:57], v[56:57], v[110:111]
	v_mov_b32_e32 v115, v117
	v_pk_add_f32 v[54:55], v[54:55], v[140:141]
	v_mov_b32_e32 v145, v147
	v_pk_add_f32 v[56:57], v[56:57], v[114:115]
	v_mov_b32_e32 v119, v121
	v_pk_add_f32 v[54:55], v[54:55], v[144:145]
	v_mov_b32_e32 v149, v151
	v_pk_add_f32 v[56:57], v[56:57], v[118:119]
	v_mov_b32_e32 v123, v125
	v_pk_add_f32 v[54:55], v[54:55], v[148:149]
	v_mov_b32_e32 v153, v155
	v_pk_add_f32 v[56:57], v[56:57], v[122:123]
	v_mov_b32_e32 v127, v129
	v_pk_add_f32 v[54:55], v[54:55], v[152:153]
	v_pk_add_f32 v[56:57], v[56:57], v[126:127]
	v_mov_b32_e32 v83, v85
	v_mov_b32_e32 v33, v31
	;; [unrolled: 1-line block ×3, first 2 shown]
	ds_write2_b64 v158, v[54:55], v[56:57] offset0:8 offset1:9
	v_mov_b32_e32 v89, v91
	v_pk_add_f32 v[54:55], v[0:1], v[82:83]
	v_pk_add_f32 v[30:31], v[0:1], v[32:33]
	v_mov_b32_e32 v37, v35
	v_pk_add_f32 v[0:1], v[0:1], v[8:9]
	v_mov_b32_e32 v13, v11
	;; [unrolled: 2-line block ×14, first 2 shown]
	v_pk_add_f32 v[54:55], v[54:55], v[104:105]
	v_pk_add_f32 v[30:31], v[30:31], v[52:53]
	;; [unrolled: 1-line block ×3, first 2 shown]
	ds_write2_b64 v158, v[54:55], v[30:31] offset0:10 offset1:11
	ds_write_b64 v158, v[0:1] offset:96
.LBB0_15:
	s_or_b64 exec, exec, s[6:7]
	s_movk_i32 s0, 0x4f
	s_waitcnt vmcnt(12)
	v_mul_lo_u16_sdwa v0, v74, s0 dst_sel:DWORD dst_unused:UNUSED_PAD src0_sel:BYTE_0 src1_sel:DWORD
	v_lshrrev_b16_e32 v37, 10, v0
	v_mul_lo_u16_e32 v0, 13, v37
	v_sub_u16_e32 v52, v74, v0
	v_mov_b32_e32 v0, 10
	v_mul_u32_u24_sdwa v0, v52, v0 dst_sel:DWORD dst_unused:UNUSED_PAD src0_sel:BYTE_0 src1_sel:DWORD
	v_lshlrev_b32_e32 v0, 3, v0
	s_waitcnt lgkmcnt(0)
	s_barrier
	global_load_dwordx4 v[8:11], v0, s[4:5]
	global_load_dwordx4 v[12:15], v0, s[4:5] offset:16
	global_load_dwordx4 v[16:19], v0, s[4:5] offset:32
	;; [unrolled: 1-line block ×4, first 2 shown]
	v_lshl_add_u32 v32, v74, 3, 0
	ds_read2_b64 v[0:3], v32 offset1:143
	v_add_u32_e32 v34, 0x800, v32
	v_add_u32_e32 v33, 0x1000, v32
	;; [unrolled: 1-line block ×4, first 2 shown]
	ds_read_b64 v[50:51], v32 offset:11440
	s_waitcnt vmcnt(5)
	ds_read2_b64 v[28:31], v34 offset0:30 offset1:173
	ds_read2_b64 v[38:41], v33 offset0:60 offset1:203
	;; [unrolled: 1-line block ×4, first 2 shown]
	v_mov_b32_e32 v53, 3
	v_mul_u32_u24_e32 v37, 0x478, v37
	v_lshlrev_b32_sdwa v52, v53, v52 dst_sel:DWORD dst_unused:UNUSED_PAD src0_sel:DWORD src1_sel:BYTE_0
	v_add3_u32 v37, 0, v37, v52
	s_mov_b32 s8, 0xbf0a6770
	s_mov_b32 s9, 0x3f575c64
	;; [unrolled: 1-line block ×20, first 2 shown]
	s_waitcnt lgkmcnt(0)
	s_barrier
	s_mov_b32 s24, 0x3e903f40
	s_mov_b32 s18, s13
	;; [unrolled: 1-line block ×10, first 2 shown]
	s_waitcnt vmcnt(4)
	v_mul_f32_e32 v52, v9, v3
	v_mul_f32_e32 v53, v9, v2
	v_mov_b32_e32 v54, v11
	v_mov_b32_e32 v55, v10
	s_waitcnt vmcnt(3)
	v_pk_mul_f32 v[56:57], v[12:13], v[30:31] op_sel:[0,1]
	v_pk_mul_f32 v[58:59], v[14:15], v[38:39] op_sel:[0,1]
	s_waitcnt vmcnt(2)
	v_pk_mul_f32 v[60:61], v[16:17], v[40:41] op_sel:[0,1]
	v_mov_b32_e32 v62, v19
	s_waitcnt vmcnt(1)
	v_pk_mul_f32 v[64:65], v[44:45], v[20:21] op_sel:[0,1]
	v_mov_b32_e32 v66, v23
	v_fma_f32 v52, v8, v2, -v52
	v_fmac_f32_e32 v53, v8, v3
	v_pk_mul_f32 v[2:3], v[54:55], v[28:29] op_sel:[0,1]
	s_waitcnt vmcnt(0)
	v_pk_mul_f32 v[68:69], v[48:49], v[24:25] op_sel:[0,1]
	v_mov_b32_e32 v70, v27
	v_pk_fma_f32 v[8:9], v[12:13], v[30:31], v[56:57] op_sel:[0,0,1] op_sel_hi:[1,1,0] neg_lo:[0,0,1] neg_hi:[0,0,1]
	v_pk_fma_f32 v[12:13], v[12:13], v[30:31], v[56:57] op_sel:[0,0,1] op_sel_hi:[1,0,0]
	v_pk_fma_f32 v[30:31], v[14:15], v[38:39], v[58:59] op_sel:[0,0,1] op_sel_hi:[1,1,0] neg_lo:[0,0,1] neg_hi:[0,0,1]
	v_pk_fma_f32 v[14:15], v[14:15], v[38:39], v[58:59] op_sel:[0,0,1] op_sel_hi:[1,0,0]
	;; [unrolled: 2-line block ×3, first 2 shown]
	v_pk_mul_f32 v[40:41], v[42:43], v[62:63] op_sel_hi:[1,0]
	v_pk_fma_f32 v[54:55], v[44:45], v[20:21], v[64:65] op_sel:[0,0,1] op_sel_hi:[1,1,0] neg_lo:[0,0,1] neg_hi:[0,0,1]
	v_pk_fma_f32 v[20:21], v[44:45], v[20:21], v[64:65] op_sel:[0,0,1] op_sel_hi:[1,0,0]
	v_pk_mul_f32 v[44:45], v[46:47], v[66:67] op_sel_hi:[1,0]
	v_pk_fma_f32 v[58:59], v[10:11], v[28:29], v[2:3] neg_lo:[0,0,1] neg_hi:[0,0,1]
	v_pk_fma_f32 v[2:3], v[10:11], v[28:29], v[2:3] op_sel_hi:[1,0,1]
	v_pk_fma_f32 v[56:57], v[48:49], v[24:25], v[68:69] op_sel:[0,0,1] op_sel_hi:[1,1,0] neg_lo:[0,0,1] neg_hi:[0,0,1]
	v_pk_fma_f32 v[24:25], v[48:49], v[24:25], v[68:69] op_sel:[0,0,1] op_sel_hi:[1,0,0]
	v_pk_mul_f32 v[48:49], v[50:51], v[70:71] op_sel_hi:[1,0]
	v_mov_b32_e32 v9, v13
	v_mov_b32_e32 v31, v15
	;; [unrolled: 1-line block ×3, first 2 shown]
	v_pk_fma_f32 v[10:11], v[42:43], v[18:19], v[40:41] op_sel:[0,0,1] op_sel_hi:[1,1,0] neg_lo:[0,0,1] neg_hi:[0,0,1]
	v_pk_fma_f32 v[12:13], v[42:43], v[18:19], v[40:41] op_sel:[0,0,1] op_sel_hi:[1,0,0]
	v_pk_fma_f32 v[14:15], v[46:47], v[22:23], v[44:45] op_sel:[0,0,1] op_sel_hi:[1,1,0] neg_lo:[0,0,1] neg_hi:[0,0,1]
	v_pk_fma_f32 v[16:17], v[46:47], v[22:23], v[44:45] op_sel:[0,0,1] op_sel_hi:[1,0,0]
	v_pk_add_f32 v[22:23], v[52:53], v[0:1]
	v_mov_b32_e32 v59, v3
	v_mov_b32_e32 v55, v21
	v_pk_fma_f32 v[18:19], v[50:51], v[26:27], v[48:49] op_sel:[0,0,1] op_sel_hi:[1,0,0] neg_lo:[0,0,1] neg_hi:[0,0,1]
	v_pk_fma_f32 v[20:21], v[50:51], v[26:27], v[48:49] op_sel:[0,0,1] op_sel_hi:[1,0,0]
	v_mov_b32_e32 v11, v13
	v_mov_b32_e32 v15, v17
	v_pk_add_f32 v[12:13], v[22:23], v[58:59]
	v_mov_b32_e32 v19, v21
	v_add_f32_e32 v3, v53, v21
	v_sub_f32_e32 v2, v53, v21
	v_pk_add_f32 v[46:47], v[8:9], v[14:15]
	v_pk_add_f32 v[20:21], v[8:9], v[14:15] neg_lo:[0,1] neg_hi:[0,1]
	v_pk_add_f32 v[8:9], v[12:13], v[8:9]
	v_mov_b32_e32 v57, v25
	v_pk_add_f32 v[8:9], v[8:9], v[30:31]
	v_add_f32_e32 v40, v52, v18
	v_pk_add_f32 v[8:9], v[8:9], v[38:39]
	v_sub_f32_e32 v41, v52, v18
	v_pk_add_f32 v[8:9], v[8:9], v[10:11]
	v_pk_add_f32 v[48:49], v[38:39], v[10:11]
	;; [unrolled: 1-line block ×3, first 2 shown]
	v_pk_add_f32 v[50:51], v[38:39], v[10:11] neg_lo:[0,1] neg_hi:[0,1]
	v_pk_add_f32 v[8:9], v[8:9], v[14:15]
	v_pk_mul_f32 v[10:11], v[40:41], s[28:29]
	v_pk_add_f32 v[8:9], v[8:9], v[56:57]
	v_pk_fma_f32 v[12:13], v[2:3], s[8:9], v[10:11] neg_lo:[1,0,0] neg_hi:[1,0,0]
	v_pk_add_f32 v[38:39], v[8:9], v[18:19]
	v_pk_fma_f32 v[8:9], v[2:3], s[8:9], v[10:11]
	v_pk_add_f32 v[44:45], v[58:59], v[56:57]
	v_pk_add_f32 v[16:17], v[58:59], v[56:57] neg_lo:[0,1] neg_hi:[0,1]
	v_mov_b32_e32 v13, v9
	v_pk_add_f32 v[18:19], v[12:13], v[0:1]
	v_mov_b32_e32 v13, v45
	v_mov_b32_e32 v45, v16
	;; [unrolled: 1-line block ×3, first 2 shown]
	v_pk_mul_f32 v[16:17], v[44:45], s[14:15]
	v_pk_add_f32 v[42:43], v[30:31], v[54:55]
	v_pk_fma_f32 v[22:23], v[12:13], s[22:23], v[16:17] neg_lo:[1,0,0] neg_hi:[1,0,0]
	v_pk_fma_f32 v[14:15], v[12:13], s[22:23], v[16:17]
	v_pk_add_f32 v[26:27], v[30:31], v[54:55] neg_lo:[0,1] neg_hi:[0,1]
	v_mov_b32_e32 v23, v15
	v_pk_add_f32 v[24:25], v[22:23], v[18:19]
	v_mov_b32_e32 v19, v47
	v_mov_b32_e32 v47, v20
	;; [unrolled: 1-line block ×3, first 2 shown]
	v_pk_mul_f32 v[22:23], v[46:47], s[26:27]
	v_pk_mul_f32 v[58:59], v[44:45], s[30:31]
	v_pk_fma_f32 v[28:29], v[18:19], s[0:1], v[22:23] neg_lo:[1,0,0] neg_hi:[1,0,0]
	v_pk_fma_f32 v[20:21], v[18:19], s[0:1], v[22:23]
	v_pk_fma_f32 v[60:61], v[12:13], s[6:7], v[58:59] neg_lo:[1,0,0] neg_hi:[1,0,0]
	v_mov_b32_e32 v29, v21
	v_pk_add_f32 v[30:31], v[28:29], v[24:25]
	v_mov_b32_e32 v25, v43
	v_mov_b32_e32 v43, v26
	;; [unrolled: 1-line block ×3, first 2 shown]
	v_pk_mul_f32 v[28:29], v[42:43], s[30:31]
	v_pk_fma_f32 v[62:63], v[12:13], s[6:7], v[58:59]
	v_pk_fma_f32 v[52:53], v[24:25], s[6:7], v[28:29] neg_lo:[1,0,0] neg_hi:[1,0,0]
	v_pk_fma_f32 v[26:27], v[24:25], s[6:7], v[28:29]
	v_mov_b32_e32 v61, v63
	v_mov_b32_e32 v53, v27
	v_pk_add_f32 v[52:53], v[52:53], v[30:31]
	v_mov_b32_e32 v31, v49
	v_mov_b32_e32 v49, v50
	;; [unrolled: 1-line block ×3, first 2 shown]
	v_pk_mul_f32 v[50:51], v[48:49], s[34:35]
	v_pk_mul_f32 v[82:83], v[44:45], s[18:19]
	v_pk_fma_f32 v[54:55], v[30:31], s[12:13], v[50:51] neg_lo:[1,0,0] neg_hi:[1,0,0]
	v_pk_fma_f32 v[56:57], v[30:31], s[12:13], v[50:51]
	v_pk_fma_f32 v[84:85], v[12:13], s[24:25], v[82:83] neg_lo:[1,0,0] neg_hi:[1,0,0]
	v_mov_b32_e32 v55, v57
	v_pk_add_f32 v[52:53], v[54:55], v[52:53]
	ds_write2_b64 v37, v[38:39], v[52:53] offset1:13
	v_pk_mul_f32 v[38:39], v[40:41], s[14:15]
	s_mov_b32 s14, 0x3f0a6770
	v_pk_fma_f32 v[52:53], v[2:3], s[22:23], v[38:39] neg_lo:[1,0,0] neg_hi:[1,0,0]
	v_pk_fma_f32 v[54:55], v[2:3], s[22:23], v[38:39]
	s_mov_b32 s39, s14
	v_mov_b32_e32 v53, v55
	v_pk_add_f32 v[52:53], v[52:53], v[0:1]
	s_mov_b32 s15, s9
	v_pk_add_f32 v[52:53], v[60:61], v[52:53]
	v_pk_mul_f32 v[60:61], v[46:47], s[18:19]
	v_pk_fma_f32 v[86:87], v[12:13], s[24:25], v[82:83]
	v_pk_fma_f32 v[64:65], v[18:19], s[24:25], v[60:61] neg_lo:[1,0,0] neg_hi:[1,0,0]
	v_pk_fma_f32 v[66:67], v[18:19], s[24:25], v[60:61]
	s_mov_b32 s18, 0x3f68dda4
	v_mov_b32_e32 v65, v67
	v_pk_add_f32 v[52:53], v[64:65], v[52:53]
	v_pk_mul_f32 v[64:65], v[42:43], s[36:37]
	v_mov_b32_e32 v85, v87
	v_pk_fma_f32 v[68:69], v[24:25], s[20:21], v[64:65] neg_lo:[1,0,0] neg_hi:[1,0,0]
	v_pk_fma_f32 v[70:71], v[24:25], s[20:21], v[64:65]
	s_mov_b32 s41, s18
	v_mov_b32_e32 v69, v71
	v_pk_add_f32 v[52:53], v[68:69], v[52:53]
	v_pk_mul_f32 v[68:69], v[48:49], s[38:39]
	s_mov_b32 s19, s23
	v_pk_fma_f32 v[72:73], v[30:31], s[14:15], v[68:69] neg_lo:[1,0,0] neg_hi:[1,0,0]
	v_pk_fma_f32 v[76:77], v[30:31], s[14:15], v[68:69]
	v_pk_mul_f32 v[100:101], v[44:45], s[36:37]
	v_mov_b32_e32 v73, v77
	v_pk_add_f32 v[52:53], v[72:73], v[52:53]
	v_pk_mul_f32 v[72:73], v[40:41], s[26:27]
	v_pk_fma_f32 v[102:103], v[12:13], s[20:21], v[100:101] neg_lo:[1,0,0] neg_hi:[1,0,0]
	v_pk_fma_f32 v[78:79], v[2:3], s[0:1], v[72:73] neg_lo:[1,0,0] neg_hi:[1,0,0]
	v_pk_fma_f32 v[80:81], v[2:3], s[0:1], v[72:73]
	v_pk_fma_f32 v[104:105], v[12:13], s[20:21], v[100:101]
	v_mov_b32_e32 v79, v81
	v_pk_add_f32 v[78:79], v[78:79], v[0:1]
	v_mov_b32_e32 v103, v105
	v_pk_add_f32 v[78:79], v[84:85], v[78:79]
	v_pk_mul_f32 v[84:85], v[46:47], s[40:41]
	v_pk_mul_f32 v[44:45], v[44:45], s[38:39]
	v_pk_fma_f32 v[88:89], v[18:19], s[18:19], v[84:85] neg_lo:[1,0,0] neg_hi:[1,0,0]
	v_pk_fma_f32 v[90:91], v[18:19], s[18:19], v[84:85]
	v_pk_fma_f32 v[120:121], v[12:13], s[14:15], v[44:45] neg_lo:[1,0,0] neg_hi:[1,0,0]
	v_mov_b32_e32 v89, v91
	v_pk_add_f32 v[78:79], v[88:89], v[78:79]
	v_pk_mul_f32 v[88:89], v[42:43], s[28:29]
	v_pk_fma_f32 v[122:123], v[12:13], s[14:15], v[44:45]
	v_pk_fma_f32 v[92:93], v[24:25], s[8:9], v[88:89] neg_lo:[1,0,0] neg_hi:[1,0,0]
	v_pk_fma_f32 v[94:95], v[24:25], s[8:9], v[88:89]
	v_mov_b32_e32 v121, v123
	v_mov_b32_e32 v93, v95
	v_pk_add_f32 v[78:79], v[92:93], v[78:79]
	v_pk_mul_f32 v[92:93], v[48:49], s[30:31]
	v_pk_fma_f32 v[44:45], v[12:13], s[14:15], v[44:45] neg_lo:[0,0,1] neg_hi:[0,0,1]
	v_pk_fma_f32 v[96:97], v[30:31], s[6:7], v[92:93] neg_lo:[1,0,0] neg_hi:[1,0,0]
	v_pk_fma_f32 v[98:99], v[30:31], s[6:7], v[92:93]
	v_mov_b32_e32 v123, v45
	v_mov_b32_e32 v97, v99
	v_pk_add_f32 v[78:79], v[96:97], v[78:79]
	ds_write2_b64 v37, v[52:53], v[78:79] offset0:26 offset1:39
	v_pk_mul_f32 v[52:53], v[40:41], s[30:31]
	v_pk_mul_f32 v[40:41], v[40:41], s[34:35]
	v_pk_fma_f32 v[78:79], v[2:3], s[6:7], v[52:53] neg_lo:[1,0,0] neg_hi:[1,0,0]
	v_pk_fma_f32 v[96:97], v[2:3], s[6:7], v[52:53]
	v_pk_fma_f32 v[118:119], v[2:3], s[12:13], v[40:41]
	v_mov_b32_e32 v79, v97
	v_pk_add_f32 v[78:79], v[78:79], v[0:1]
	v_pk_fma_f32 v[38:39], v[2:3], s[22:23], v[38:39] neg_lo:[0,0,1] neg_hi:[0,0,1]
	v_pk_add_f32 v[78:79], v[102:103], v[78:79]
	v_pk_mul_f32 v[102:103], v[46:47], s[28:29]
	v_pk_mul_f32 v[46:47], v[46:47], s[30:31]
	v_pk_fma_f32 v[106:107], v[18:19], s[8:9], v[102:103] neg_lo:[1,0,0] neg_hi:[1,0,0]
	v_pk_fma_f32 v[108:109], v[18:19], s[8:9], v[102:103]
	v_pk_fma_f32 v[124:125], v[18:19], s[6:7], v[46:47]
	v_mov_b32_e32 v107, v109
	v_pk_add_f32 v[78:79], v[106:107], v[78:79]
	v_pk_mul_f32 v[106:107], v[42:43], s[34:35]
	v_pk_mul_f32 v[42:43], v[42:43], s[40:41]
	v_pk_fma_f32 v[110:111], v[24:25], s[12:13], v[106:107] neg_lo:[1,0,0] neg_hi:[1,0,0]
	v_pk_fma_f32 v[112:113], v[24:25], s[12:13], v[106:107]
	v_pk_fma_f32 v[126:127], v[24:25], s[18:19], v[42:43]
	v_mov_b32_e32 v111, v113
	;; [unrolled: 7-line block ×3, first 2 shown]
	v_pk_add_f32 v[78:79], v[114:115], v[78:79]
	v_pk_fma_f32 v[114:115], v[2:3], s[12:13], v[40:41] neg_lo:[1,0,0] neg_hi:[1,0,0]
	v_pk_fma_f32 v[40:41], v[2:3], s[12:13], v[40:41] neg_lo:[0,0,1] neg_hi:[0,0,1]
	v_mov_b32_e32 v115, v119
	v_pk_add_f32 v[114:115], v[114:115], v[0:1]
	v_pk_fma_f32 v[44:45], v[18:19], s[6:7], v[46:47] neg_lo:[0,0,1] neg_hi:[0,0,1]
	v_pk_add_f32 v[114:115], v[120:121], v[114:115]
	v_pk_fma_f32 v[120:121], v[18:19], s[6:7], v[46:47] neg_lo:[1,0,0] neg_hi:[1,0,0]
	v_mov_b32_e32 v119, v41
	v_mov_b32_e32 v121, v125
	v_pk_add_f32 v[114:115], v[120:121], v[114:115]
	v_pk_fma_f32 v[120:121], v[24:25], s[18:19], v[42:43] neg_lo:[1,0,0] neg_hi:[1,0,0]
	v_pk_fma_f32 v[42:43], v[24:25], s[18:19], v[42:43] neg_lo:[0,0,1] neg_hi:[0,0,1]
	v_mov_b32_e32 v121, v127
	v_pk_add_f32 v[114:115], v[120:121], v[114:115]
	v_pk_fma_f32 v[120:121], v[30:31], s[0:1], v[48:49] neg_lo:[1,0,0] neg_hi:[1,0,0]
	v_mov_b32_e32 v127, v43
	v_pk_fma_f32 v[42:43], v[30:31], s[0:1], v[48:49] neg_lo:[0,0,1] neg_hi:[0,0,1]
	v_mov_b32_e32 v121, v129
	v_mov_b32_e32 v129, v43
	v_pk_fma_f32 v[42:43], v[2:3], s[6:7], v[52:53] neg_lo:[0,0,1] neg_hi:[0,0,1]
	v_mov_b32_e32 v125, v45
	v_mov_b32_e32 v97, v43
	v_pk_fma_f32 v[44:45], v[12:13], s[20:21], v[100:101] neg_lo:[0,0,1] neg_hi:[0,0,1]
	v_pk_add_f32 v[40:41], v[118:119], v[0:1]
	v_pk_add_f32 v[42:43], v[96:97], v[0:1]
	v_mov_b32_e32 v105, v45
	v_pk_fma_f32 v[44:45], v[18:19], s[8:9], v[102:103] neg_lo:[0,0,1] neg_hi:[0,0,1]
	v_pk_add_f32 v[40:41], v[122:123], v[40:41]
	v_pk_add_f32 v[42:43], v[104:105], v[42:43]
	;; [unrolled: 4-line block ×4, first 2 shown]
	v_mov_b32_e32 v117, v45
	v_pk_add_f32 v[40:41], v[128:129], v[40:41]
	v_pk_add_f32 v[42:43], v[116:117], v[42:43]
	ds_write2_b64 v37, v[40:41], v[42:43] offset0:78 offset1:91
	v_pk_fma_f32 v[42:43], v[12:13], s[24:25], v[82:83] neg_lo:[0,0,1] neg_hi:[0,0,1]
	v_pk_fma_f32 v[40:41], v[2:3], s[0:1], v[72:73] neg_lo:[0,0,1] neg_hi:[0,0,1]
	v_mov_b32_e32 v87, v43
	v_pk_fma_f32 v[42:43], v[18:19], s[18:19], v[84:85] neg_lo:[0,0,1] neg_hi:[0,0,1]
	v_pk_fma_f32 v[2:3], v[2:3], s[8:9], v[10:11] neg_lo:[0,0,1] neg_hi:[0,0,1]
	v_mov_b32_e32 v91, v43
	v_pk_fma_f32 v[42:43], v[24:25], s[8:9], v[88:89] neg_lo:[0,0,1] neg_hi:[0,0,1]
	v_mov_b32_e32 v81, v41
	v_mov_b32_e32 v95, v43
	v_pk_fma_f32 v[42:43], v[30:31], s[6:7], v[92:93] neg_lo:[0,0,1] neg_hi:[0,0,1]
	v_mov_b32_e32 v55, v39
	;; [unrolled: 3-line block ×3, first 2 shown]
	v_pk_fma_f32 v[2:3], v[12:13], s[22:23], v[16:17] neg_lo:[0,0,1] neg_hi:[0,0,1]
	v_pk_add_f32 v[40:41], v[80:81], v[0:1]
	v_pk_add_f32 v[38:39], v[54:55], v[0:1]
	v_mov_b32_e32 v63, v43
	v_pk_fma_f32 v[42:43], v[18:19], s[24:25], v[60:61] neg_lo:[0,0,1] neg_hi:[0,0,1]
	v_pk_add_f32 v[0:1], v[8:9], v[0:1]
	v_mov_b32_e32 v15, v3
	v_pk_fma_f32 v[2:3], v[18:19], s[0:1], v[22:23] neg_lo:[0,0,1] neg_hi:[0,0,1]
	v_pk_add_f32 v[40:41], v[86:87], v[40:41]
	v_pk_add_f32 v[38:39], v[62:63], v[38:39]
	v_mov_b32_e32 v67, v43
	v_pk_fma_f32 v[42:43], v[24:25], s[20:21], v[64:65] neg_lo:[0,0,1] neg_hi:[0,0,1]
	v_pk_add_f32 v[0:1], v[14:15], v[0:1]
	v_mov_b32_e32 v21, v3
	;; [unrolled: 7-line block ×3, first 2 shown]
	v_pk_fma_f32 v[2:3], v[30:31], s[12:13], v[50:51] neg_lo:[0,0,1] neg_hi:[0,0,1]
	v_pk_add_f32 v[40:41], v[94:95], v[40:41]
	v_pk_add_f32 v[38:39], v[70:71], v[38:39]
	v_mov_b32_e32 v77, v43
	v_pk_add_f32 v[0:1], v[26:27], v[0:1]
	v_mov_b32_e32 v57, v3
	v_pk_add_f32 v[114:115], v[120:121], v[114:115]
	v_pk_add_f32 v[40:41], v[98:99], v[40:41]
	;; [unrolled: 1-line block ×4, first 2 shown]
	ds_write2_b64 v37, v[78:79], v[114:115] offset0:52 offset1:65
	ds_write2_b64 v37, v[40:41], v[38:39] offset0:104 offset1:117
	ds_write_b64 v37, v[0:1] offset:1040
	s_waitcnt lgkmcnt(0)
	s_barrier
	s_and_saveexec_b64 s[26:27], vcc
	s_cbranch_execz .LBB0_17
; %bb.16:
	v_mul_lo_u32 v0, s3, v6
	v_mul_lo_u32 v1, s2, v7
	v_mad_u64_u32 v[6:7], s[2:3], s2, v6, 0
	v_add3_u32 v7, v7, v1, v0
	v_mul_u32_u24_e32 v0, 10, v74
	v_lshlrev_b32_e32 v12, 3, v0
	ds_read_b64 v[22:23], v32 offset:11440
	ds_read2_b64 v[0:3], v32 offset1:143
	ds_read2_b64 v[24:27], v36 offset0:56 offset1:199
	ds_read2_b64 v[28:31], v34 offset0:30 offset1:173
	;; [unrolled: 1-line block ×4, first 2 shown]
	global_load_dwordx4 v[42:45], v12, s[4:5] offset:1056
	global_load_dwordx4 v[46:49], v12, s[4:5] offset:1040
	;; [unrolled: 1-line block ×5, first 2 shown]
	v_lshl_add_u64 v[6:7], v[6:7], 3, s[10:11]
	v_lshl_add_u64 v[14:15], v[4:5], 3, v[6:7]
	v_add_u32_e32 v7, 0x8f, v75
	v_mad_u64_u32 v[4:5], s[2:3], s16, v7, 0
	v_mov_b32_e32 v6, v5
	v_mad_u64_u32 v[6:7], s[2:3], s17, v7, v[6:7]
	v_mov_b32_e32 v5, v6
	v_add_u32_e32 v7, 0x11e, v75
	v_lshl_add_u64 v[32:33], v[4:5], 3, v[14:15]
	v_mad_u64_u32 v[4:5], s[2:3], s16, v7, 0
	v_mov_b32_e32 v6, v5
	v_mad_u64_u32 v[6:7], s[2:3], s17, v7, v[6:7]
	v_mov_b32_e32 v5, v6
	v_add_u32_e32 v7, 0x1ad, v75
	v_lshl_add_u64 v[62:63], v[4:5], 3, v[14:15]
	;; [unrolled: 6-line block ×3, first 2 shown]
	v_mad_u64_u32 v[4:5], s[2:3], s16, v7, 0
	v_mov_b32_e32 v6, v5
	v_mad_u64_u32 v[8:9], s[2:3], s16, v75, 0
	v_mad_u64_u32 v[6:7], s[2:3], s17, v7, v[6:7]
	v_mov_b32_e32 v10, v9
	v_mov_b32_e32 v5, v6
	v_add_u32_e32 v7, 0x2cb, v75
	v_mad_u64_u32 v[10:11], s[2:3], s17, v75, v[10:11]
	v_lshl_add_u64 v[16:17], v[4:5], 3, v[14:15]
	v_mad_u64_u32 v[4:5], s[2:3], s16, v7, 0
	v_mov_b32_e32 v9, v10
	v_mov_b32_e32 v6, v5
	v_lshl_add_u64 v[20:21], v[8:9], 3, v[14:15]
	v_mad_u64_u32 v[6:7], s[2:3], s17, v7, v[6:7]
	v_add_u32_e32 v9, 0x35a, v75
	v_mov_b32_e32 v5, v6
	v_mad_u64_u32 v[6:7], s[2:3], s16, v9, 0
	v_mov_b32_e32 v8, v7
	v_mad_u64_u32 v[8:9], s[2:3], s17, v9, v[8:9]
	v_add_u32_e32 v11, 0x3e9, v75
	v_mov_b32_e32 v7, v8
	v_mad_u64_u32 v[8:9], s[2:3], s16, v11, 0
	v_mov_b32_e32 v10, v9
	;; [unrolled: 5-line block ×5, first 2 shown]
	v_mad_u64_u32 v[66:67], s[2:3], s17, v67, v[66:67]
	v_mov_b32_e32 v65, v66
	v_lshl_add_u64 v[4:5], v[4:5], 3, v[14:15]
	v_lshl_add_u64 v[6:7], v[6:7], 3, v[14:15]
	;; [unrolled: 1-line block ×6, first 2 shown]
	s_waitcnt vmcnt(3) lgkmcnt(4)
	v_pk_mul_f32 v[64:65], v[46:47], v[2:3] op_sel:[0,1]
	s_mov_b32 s10, s9
	v_pk_fma_f32 v[66:67], v[46:47], v[2:3], v[64:65] op_sel:[0,0,1] op_sel_hi:[1,1,0] neg_lo:[0,0,1] neg_hi:[0,0,1]
	v_pk_fma_f32 v[2:3], v[46:47], v[2:3], v[64:65] op_sel:[0,0,1] op_sel_hi:[1,0,0]
	s_mov_b32 s4, s23
	v_mov_b32_e32 v67, v3
	s_waitcnt vmcnt(2)
	v_pk_mul_f32 v[2:3], v[52:53], v[22:23] op_sel:[0,1]
	s_mov_b32 s2, s1
	v_pk_fma_f32 v[46:47], v[52:53], v[22:23], v[2:3] op_sel:[0,0,1] op_sel_hi:[1,1,0] neg_lo:[0,0,1] neg_hi:[0,0,1]
	v_pk_fma_f32 v[2:3], v[52:53], v[22:23], v[2:3] op_sel:[0,0,1] op_sel_hi:[1,0,0]
	s_waitcnt lgkmcnt(2)
	v_pk_mul_f32 v[52:53], v[48:49], v[28:29] op_sel:[0,1]
	v_mov_b32_e32 v47, v3
	v_pk_fma_f32 v[64:65], v[48:49], v[28:29], v[52:53] op_sel:[0,0,1] op_sel_hi:[1,1,0] neg_lo:[0,0,1] neg_hi:[0,0,1]
	v_pk_fma_f32 v[28:29], v[48:49], v[28:29], v[52:53] op_sel:[0,0,1] op_sel_hi:[1,0,0]
	v_pk_add_f32 v[2:3], v[46:47], v[66:67]
	v_mov_b32_e32 v65, v29
	v_pk_mul_f32 v[28:29], v[50:51], v[26:27] op_sel:[0,1]
	v_pk_add_f32 v[22:23], v[66:67], v[46:47] neg_lo:[0,1] neg_hi:[0,1]
	v_pk_fma_f32 v[48:49], v[50:51], v[26:27], v[28:29] op_sel:[0,0,1] op_sel_hi:[1,1,0] neg_lo:[0,0,1] neg_hi:[0,0,1]
	v_pk_fma_f32 v[26:27], v[50:51], v[26:27], v[28:29] op_sel:[0,0,1] op_sel_hi:[1,0,0]
	v_pk_mul_f32 v[50:51], v[42:43], v[30:31] op_sel:[0,1]
	v_mov_b32_e32 v49, v27
	v_pk_fma_f32 v[52:53], v[42:43], v[30:31], v[50:51] op_sel:[0,0,1] op_sel_hi:[1,1,0] neg_lo:[0,0,1] neg_hi:[0,0,1]
	v_pk_fma_f32 v[30:31], v[42:43], v[30:31], v[50:51] op_sel:[0,0,1] op_sel_hi:[1,0,0]
	s_waitcnt lgkmcnt(0)
	v_pk_mul_f32 v[50:51], v[44:45], v[38:39] op_sel:[0,1]
	v_mov_b32_e32 v53, v31
	s_waitcnt vmcnt(1)
	v_pk_mul_f32 v[30:31], v[56:57], v[24:25] op_sel:[0,1]
	v_pk_add_f32 v[66:67], v[66:67], v[0:1]
	v_pk_fma_f32 v[42:43], v[56:57], v[24:25], v[30:31] op_sel:[0,0,1] op_sel_hi:[1,1,0] neg_lo:[0,0,1] neg_hi:[0,0,1]
	v_pk_fma_f32 v[24:25], v[56:57], v[24:25], v[30:31] op_sel:[0,0,1] op_sel_hi:[1,0,0]
	v_pk_fma_f32 v[56:57], v[44:45], v[38:39], v[50:51] op_sel:[0,0,1] op_sel_hi:[1,1,0] neg_lo:[0,0,1] neg_hi:[0,0,1]
	v_pk_fma_f32 v[38:39], v[44:45], v[38:39], v[50:51] op_sel:[0,0,1] op_sel_hi:[1,0,0]
	s_waitcnt vmcnt(0)
	v_pk_mul_f32 v[50:51], v[58:59], v[40:41] op_sel:[0,1]
	v_mov_b32_e32 v57, v39
	v_pk_mul_f32 v[38:39], v[54:55], v[36:37] op_sel:[0,1]
	v_pk_add_f32 v[26:27], v[48:49], v[64:65]
	v_pk_add_f32 v[28:29], v[64:65], v[48:49] neg_lo:[0,1] neg_hi:[0,1]
	v_mov_b32_e32 v43, v25
	v_pk_fma_f32 v[44:45], v[54:55], v[36:37], v[38:39] op_sel:[0,0,1] op_sel_hi:[1,1,0] neg_lo:[0,0,1] neg_hi:[0,0,1]
	v_pk_fma_f32 v[36:37], v[54:55], v[36:37], v[38:39] op_sel:[0,0,1] op_sel_hi:[1,0,0]
	v_pk_fma_f32 v[54:55], v[58:59], v[40:41], v[50:51] op_sel:[0,0,1] op_sel_hi:[1,1,0] neg_lo:[0,0,1] neg_hi:[0,0,1]
	v_pk_fma_f32 v[40:41], v[58:59], v[40:41], v[50:51] op_sel:[0,0,1] op_sel_hi:[1,0,0]
	v_pk_add_f32 v[64:65], v[66:67], v[64:65]
	v_pk_add_f32 v[24:25], v[42:43], v[52:53]
	v_pk_add_f32 v[30:31], v[52:53], v[42:43] neg_lo:[0,1] neg_hi:[0,1]
	v_mov_b32_e32 v55, v41
	v_pk_mul_f32 v[40:41], v[60:61], v[34:35] op_sel:[0,1]
	v_pk_add_f32 v[52:53], v[64:65], v[52:53]
	v_pk_fma_f32 v[50:51], v[60:61], v[34:35], v[40:41] op_sel:[0,0,1] op_sel_hi:[1,1,0] neg_lo:[0,0,1] neg_hi:[0,0,1]
	v_pk_fma_f32 v[34:35], v[60:61], v[34:35], v[40:41] op_sel:[0,0,1] op_sel_hi:[1,0,0]
	v_pk_add_f32 v[52:53], v[52:53], v[56:57]
	v_mov_b32_e32 v51, v35
	v_pk_mul_f32 v[58:59], v[22:23], s[8:9] op_sel:[1,0] op_sel_hi:[0,0]
	v_pk_add_f32 v[52:53], v[52:53], v[54:55]
	v_mov_b32_e32 v45, v37
	v_pk_add_f32 v[34:35], v[50:51], v[54:55]
	v_pk_add_f32 v[40:41], v[54:55], v[50:51] neg_lo:[0,1] neg_hi:[0,1]
	v_pk_mul_f32 v[60:61], v[28:29], s[22:23] op_sel:[1,0] op_sel_hi:[0,0]
	v_pk_fma_f32 v[74:75], v[2:3], s[10:11], v[58:59] op_sel_hi:[1,0,1]
	v_pk_fma_f32 v[58:59], v[2:3], s[10:11], v[58:59] op_sel_hi:[1,0,1] neg_lo:[0,0,1] neg_hi:[0,0,1]
	v_pk_add_f32 v[50:51], v[50:51], v[52:53]
	v_pk_add_f32 v[36:37], v[44:45], v[56:57]
	v_pk_add_f32 v[38:39], v[56:57], v[44:45] neg_lo:[0,1] neg_hi:[0,1]
	v_mov_b32_e32 v76, v74
	v_mov_b32_e32 v77, v59
	v_pk_fma_f32 v[78:79], v[26:27], s[4:5], v[60:61] op_sel_hi:[1,0,1]
	v_pk_fma_f32 v[60:61], v[26:27], s[4:5], v[60:61] op_sel_hi:[1,0,1] neg_lo:[0,0,1] neg_hi:[0,0,1]
	v_pk_add_f32 v[44:45], v[44:45], v[50:51]
	v_pk_mul_f32 v[68:69], v[30:31], s[0:1] op_sel:[1,0] op_sel_hi:[0,0]
	v_pk_add_f32 v[76:77], v[76:77], v[0:1]
	v_mov_b32_e32 v80, v78
	v_mov_b32_e32 v81, v61
	v_pk_add_f32 v[42:43], v[42:43], v[44:45]
	v_pk_add_f32 v[76:77], v[76:77], v[80:81]
	v_pk_fma_f32 v[80:81], v[24:25], s[2:3], v[68:69] op_sel_hi:[1,0,1]
	v_pk_fma_f32 v[68:69], v[24:25], s[2:3], v[68:69] op_sel_hi:[1,0,1] neg_lo:[0,0,1] neg_hi:[0,0,1]
	v_pk_add_f32 v[42:43], v[48:49], v[42:43]
	s_mov_b32 s16, s7
	v_pk_mul_f32 v[70:71], v[38:39], s[6:7] op_sel:[1,0] op_sel_hi:[0,0]
	v_mov_b32_e32 v82, v80
	v_mov_b32_e32 v83, v69
	v_pk_add_f32 v[42:43], v[46:47], v[42:43]
	v_mov_b32_e32 v59, v75
	v_pk_add_f32 v[76:77], v[76:77], v[82:83]
	v_pk_fma_f32 v[82:83], v[36:37], s[16:17], v[70:71] op_sel_hi:[1,0,1]
	v_pk_fma_f32 v[70:71], v[36:37], s[16:17], v[70:71] op_sel_hi:[1,0,1] neg_lo:[0,0,1] neg_hi:[0,0,1]
	global_store_dwordx2 v[20:21], v[42:43], off
	v_pk_add_f32 v[20:21], v[58:59], v[0:1]
	v_mov_b32_e32 v61, v79
	s_mov_b32 s26, s13
	v_pk_mul_f32 v[72:73], v[40:41], s[12:13] op_sel:[1,0] op_sel_hi:[0,0]
	v_mov_b32_e32 v84, v82
	v_mov_b32_e32 v85, v71
	v_pk_add_f32 v[20:21], v[20:21], v[60:61]
	v_mov_b32_e32 v69, v81
	v_pk_add_f32 v[76:77], v[76:77], v[84:85]
	v_pk_fma_f32 v[84:85], v[34:35], s[26:27], v[72:73] op_sel_hi:[1,0,1]
	v_pk_fma_f32 v[72:73], v[34:35], s[26:27], v[72:73] op_sel_hi:[1,0,1] neg_lo:[0,0,1] neg_hi:[0,0,1]
	v_pk_add_f32 v[20:21], v[20:21], v[68:69]
	v_mov_b32_e32 v71, v83
	v_mov_b32_e32 v87, v73
	v_pk_add_f32 v[20:21], v[20:21], v[70:71]
	v_mov_b32_e32 v73, v85
	v_pk_add_f32 v[20:21], v[20:21], v[72:73]
	global_store_dwordx2 v[32:33], v[20:21], off
	v_pk_mul_f32 v[20:21], v[22:23], s[22:23] op_sel:[1,0] op_sel_hi:[0,0]
	v_pk_mul_f32 v[32:33], v[28:29], s[6:7] op_sel:[1,0] op_sel_hi:[0,0]
	v_pk_fma_f32 v[48:49], v[2:3], s[4:5], v[20:21] op_sel_hi:[1,0,1]
	v_pk_fma_f32 v[20:21], v[2:3], s[4:5], v[20:21] op_sel_hi:[1,0,1] neg_lo:[0,0,1] neg_hi:[0,0,1]
	v_mov_b32_e32 v50, v48
	v_mov_b32_e32 v51, v21
	v_pk_fma_f32 v[52:53], v[26:27], s[16:17], v[32:33] op_sel_hi:[1,0,1]
	v_pk_fma_f32 v[32:33], v[26:27], s[16:17], v[32:33] op_sel_hi:[1,0,1] neg_lo:[0,0,1] neg_hi:[0,0,1]
	v_pk_mul_f32 v[42:43], v[30:31], s[24:25] op_sel:[1,0] op_sel_hi:[0,0]
	v_pk_add_f32 v[50:51], v[50:51], v[0:1]
	v_mov_b32_e32 v54, v52
	v_mov_b32_e32 v55, v33
	v_pk_add_f32 v[50:51], v[50:51], v[54:55]
	v_pk_fma_f32 v[54:55], v[24:25], s[26:27], v[42:43] op_sel_hi:[1,0,1]
	v_pk_fma_f32 v[42:43], v[24:25], s[26:27], v[42:43] op_sel_hi:[1,0,1] neg_lo:[0,0,1] neg_hi:[0,0,1]
	v_pk_mul_f32 v[44:45], v[38:39], s[20:21] op_sel:[1,0] op_sel_hi:[0,0]
	v_mov_b32_e32 v56, v54
	v_mov_b32_e32 v57, v43
	;; [unrolled: 1-line block ×3, first 2 shown]
	v_pk_add_f32 v[50:51], v[50:51], v[56:57]
	v_pk_fma_f32 v[56:57], v[36:37], s[2:3], v[44:45] op_sel_hi:[1,0,1]
	v_pk_fma_f32 v[44:45], v[36:37], s[2:3], v[44:45] op_sel_hi:[1,0,1] neg_lo:[0,0,1] neg_hi:[0,0,1]
	v_pk_add_f32 v[20:21], v[20:21], v[0:1]
	v_mov_b32_e32 v33, v53
	v_pk_mul_f32 v[46:47], v[40:41], s[14:15] op_sel:[1,0] op_sel_hi:[0,0]
	v_mov_b32_e32 v58, v56
	v_mov_b32_e32 v59, v45
	v_pk_add_f32 v[20:21], v[20:21], v[32:33]
	v_mov_b32_e32 v43, v55
	v_pk_add_f32 v[50:51], v[50:51], v[58:59]
	v_pk_fma_f32 v[58:59], v[34:35], s[10:11], v[46:47] op_sel_hi:[1,0,1]
	v_pk_fma_f32 v[46:47], v[34:35], s[10:11], v[46:47] op_sel_hi:[1,0,1] neg_lo:[0,0,1] neg_hi:[0,0,1]
	v_pk_add_f32 v[20:21], v[20:21], v[42:43]
	v_mov_b32_e32 v45, v57
	v_mov_b32_e32 v61, v47
	v_pk_add_f32 v[20:21], v[20:21], v[44:45]
	v_mov_b32_e32 v47, v59
	v_pk_add_f32 v[20:21], v[20:21], v[46:47]
	global_store_dwordx2 v[62:63], v[20:21], off
	v_pk_mul_f32 v[20:21], v[22:23], s[0:1] op_sel:[1,0] op_sel_hi:[0,0]
	v_pk_mul_f32 v[32:33], v[28:29], s[24:25] op_sel:[1,0] op_sel_hi:[0,0]
	v_pk_fma_f32 v[48:49], v[2:3], s[2:3], v[20:21] op_sel_hi:[1,0,1]
	v_pk_fma_f32 v[20:21], v[2:3], s[2:3], v[20:21] op_sel_hi:[1,0,1] neg_lo:[0,0,1] neg_hi:[0,0,1]
	v_mov_b32_e32 v52, v48
	v_mov_b32_e32 v53, v21
	v_pk_fma_f32 v[54:55], v[26:27], s[26:27], v[32:33] op_sel_hi:[1,0,1]
	v_pk_fma_f32 v[32:33], v[26:27], s[26:27], v[32:33] op_sel_hi:[1,0,1] neg_lo:[0,0,1] neg_hi:[0,0,1]
	v_pk_mul_f32 v[42:43], v[30:31], s[18:19] op_sel:[1,0] op_sel_hi:[0,0]
	v_pk_add_f32 v[52:53], v[52:53], v[0:1]
	v_mov_b32_e32 v56, v54
	v_mov_b32_e32 v57, v33
	v_pk_add_f32 v[52:53], v[52:53], v[56:57]
	v_pk_fma_f32 v[56:57], v[24:25], s[4:5], v[42:43] op_sel_hi:[1,0,1]
	v_pk_fma_f32 v[42:43], v[24:25], s[4:5], v[42:43] op_sel_hi:[1,0,1] neg_lo:[0,0,1] neg_hi:[0,0,1]
	v_mov_b32_e32 v60, v58
	v_pk_mul_f32 v[44:45], v[38:39], s[8:9] op_sel:[1,0] op_sel_hi:[0,0]
	v_mov_b32_e32 v58, v56
	v_mov_b32_e32 v59, v43
	;; [unrolled: 1-line block ×3, first 2 shown]
	v_pk_add_f32 v[52:53], v[52:53], v[58:59]
	v_pk_fma_f32 v[58:59], v[36:37], s[10:11], v[44:45] op_sel_hi:[1,0,1]
	v_pk_fma_f32 v[44:45], v[36:37], s[10:11], v[44:45] op_sel_hi:[1,0,1] neg_lo:[0,0,1] neg_hi:[0,0,1]
	v_pk_add_f32 v[20:21], v[20:21], v[0:1]
	v_mov_b32_e32 v33, v55
	v_pk_add_f32 v[50:51], v[50:51], v[60:61]
	v_pk_mul_f32 v[46:47], v[40:41], s[6:7] op_sel:[1,0] op_sel_hi:[0,0]
	v_mov_b32_e32 v60, v58
	v_mov_b32_e32 v61, v45
	v_pk_add_f32 v[20:21], v[20:21], v[32:33]
	v_mov_b32_e32 v43, v57
	v_pk_add_f32 v[52:53], v[52:53], v[60:61]
	v_pk_fma_f32 v[60:61], v[34:35], s[16:17], v[46:47] op_sel_hi:[1,0,1]
	v_pk_fma_f32 v[46:47], v[34:35], s[16:17], v[46:47] op_sel_hi:[1,0,1] neg_lo:[0,0,1] neg_hi:[0,0,1]
	v_pk_add_f32 v[20:21], v[20:21], v[42:43]
	v_mov_b32_e32 v45, v59
	v_mov_b32_e32 v63, v47
	v_pk_add_f32 v[20:21], v[20:21], v[44:45]
	v_mov_b32_e32 v47, v61
	v_pk_add_f32 v[20:21], v[20:21], v[46:47]
	global_store_dwordx2 v[18:19], v[20:21], off
	v_pk_mul_f32 v[18:19], v[22:23], s[6:7] op_sel:[1,0] op_sel_hi:[0,0]
	v_pk_mul_f32 v[20:21], v[28:29], s[20:21] op_sel:[1,0] op_sel_hi:[0,0]
	v_pk_fma_f32 v[46:47], v[2:3], s[16:17], v[18:19] op_sel_hi:[1,0,1]
	v_pk_fma_f32 v[18:19], v[2:3], s[16:17], v[18:19] op_sel_hi:[1,0,1] neg_lo:[0,0,1] neg_hi:[0,0,1]
	v_mov_b32_e32 v48, v46
	v_mov_b32_e32 v49, v19
	v_pk_fma_f32 v[54:55], v[26:27], s[2:3], v[20:21] op_sel_hi:[1,0,1]
	v_pk_fma_f32 v[20:21], v[26:27], s[2:3], v[20:21] op_sel_hi:[1,0,1] neg_lo:[0,0,1] neg_hi:[0,0,1]
	v_pk_mul_f32 v[32:33], v[30:31], s[8:9] op_sel:[1,0] op_sel_hi:[0,0]
	v_pk_add_f32 v[48:49], v[48:49], v[0:1]
	v_mov_b32_e32 v56, v54
	v_mov_b32_e32 v57, v21
	v_pk_add_f32 v[48:49], v[48:49], v[56:57]
	v_pk_fma_f32 v[56:57], v[24:25], s[10:11], v[32:33] op_sel_hi:[1,0,1]
	v_pk_fma_f32 v[32:33], v[24:25], s[10:11], v[32:33] op_sel_hi:[1,0,1] neg_lo:[0,0,1] neg_hi:[0,0,1]
	v_pk_mul_f32 v[42:43], v[38:39], s[12:13] op_sel:[1,0] op_sel_hi:[0,0]
	v_mov_b32_e32 v58, v56
	v_mov_b32_e32 v59, v33
	;; [unrolled: 1-line block ×3, first 2 shown]
	v_pk_add_f32 v[48:49], v[48:49], v[58:59]
	v_pk_fma_f32 v[58:59], v[36:37], s[26:27], v[42:43] op_sel_hi:[1,0,1]
	v_pk_fma_f32 v[42:43], v[36:37], s[26:27], v[42:43] op_sel_hi:[1,0,1] neg_lo:[0,0,1] neg_hi:[0,0,1]
	v_pk_add_f32 v[18:19], v[18:19], v[0:1]
	v_mov_b32_e32 v21, v55
	v_mov_b32_e32 v62, v60
	v_pk_mul_f32 v[44:45], v[40:41], s[18:19] op_sel:[1,0] op_sel_hi:[0,0]
	v_mov_b32_e32 v60, v58
	v_mov_b32_e32 v61, v43
	v_pk_add_f32 v[18:19], v[18:19], v[20:21]
	v_mov_b32_e32 v33, v57
	v_pk_add_f32 v[48:49], v[48:49], v[60:61]
	v_pk_fma_f32 v[60:61], v[34:35], s[4:5], v[44:45] op_sel_hi:[1,0,1]
	v_pk_fma_f32 v[44:45], v[34:35], s[4:5], v[44:45] op_sel_hi:[1,0,1] neg_lo:[0,0,1] neg_hi:[0,0,1]
	v_pk_add_f32 v[18:19], v[18:19], v[32:33]
	v_mov_b32_e32 v43, v59
	v_pk_add_f32 v[52:53], v[52:53], v[62:63]
	v_mov_b32_e32 v63, v45
	;; [unrolled: 2-line block ×3, first 2 shown]
	v_pk_add_f32 v[18:19], v[18:19], v[44:45]
	global_store_dwordx2 v[16:17], v[18:19], off
	v_pk_mul_f32 v[16:17], v[22:23], s[12:13] op_sel:[1,0] op_sel_hi:[0,0]
	v_pk_fma_f32 v[18:19], v[2:3], s[26:27], v[16:17] op_sel_hi:[1,0,1]
	v_pk_fma_f32 v[2:3], v[2:3], s[26:27], v[16:17] op_sel_hi:[1,0,1] neg_lo:[0,0,1] neg_hi:[0,0,1]
	v_pk_mul_f32 v[20:21], v[28:29], s[14:15] op_sel:[1,0] op_sel_hi:[0,0]
	v_mov_b32_e32 v16, v18
	v_mov_b32_e32 v17, v3
	v_pk_fma_f32 v[22:23], v[26:27], s[10:11], v[20:21] op_sel_hi:[1,0,1]
	v_pk_fma_f32 v[20:21], v[26:27], s[10:11], v[20:21] op_sel_hi:[1,0,1] neg_lo:[0,0,1] neg_hi:[0,0,1]
	v_pk_add_f32 v[16:17], v[16:17], v[0:1]
	v_mov_b32_e32 v26, v22
	v_mov_b32_e32 v27, v21
	v_pk_add_f32 v[16:17], v[16:17], v[26:27]
	v_pk_mul_f32 v[26:27], v[30:31], s[6:7] op_sel:[1,0] op_sel_hi:[0,0]
	v_pk_fma_f32 v[28:29], v[24:25], s[16:17], v[26:27] op_sel_hi:[1,0,1]
	v_pk_fma_f32 v[24:25], v[24:25], s[16:17], v[26:27] op_sel_hi:[1,0,1] neg_lo:[0,0,1] neg_hi:[0,0,1]
	v_mov_b32_e32 v26, v28
	v_mov_b32_e32 v27, v25
	v_pk_add_f32 v[16:17], v[16:17], v[26:27]
	v_pk_mul_f32 v[26:27], v[38:39], s[18:19] op_sel:[1,0] op_sel_hi:[0,0]
	v_pk_fma_f32 v[30:31], v[36:37], s[4:5], v[26:27] op_sel_hi:[1,0,1]
	v_pk_fma_f32 v[26:27], v[36:37], s[4:5], v[26:27] op_sel_hi:[1,0,1] neg_lo:[0,0,1] neg_hi:[0,0,1]
	v_mov_b32_e32 v3, v19
	v_mov_b32_e32 v32, v30
	;; [unrolled: 1-line block ×3, first 2 shown]
	v_pk_add_f32 v[0:1], v[2:3], v[0:1]
	v_mov_b32_e32 v21, v23
	v_pk_add_f32 v[16:17], v[16:17], v[32:33]
	v_pk_mul_f32 v[32:33], v[40:41], s[0:1] op_sel:[1,0] op_sel_hi:[0,0]
	v_pk_add_f32 v[0:1], v[0:1], v[20:21]
	v_mov_b32_e32 v25, v29
	v_pk_fma_f32 v[36:37], v[34:35], s[2:3], v[32:33] op_sel_hi:[1,0,1]
	v_pk_fma_f32 v[32:33], v[34:35], s[2:3], v[32:33] op_sel_hi:[1,0,1] neg_lo:[0,0,1] neg_hi:[0,0,1]
	v_pk_add_f32 v[0:1], v[0:1], v[24:25]
	v_mov_b32_e32 v27, v31
	v_mov_b32_e32 v35, v33
	v_pk_add_f32 v[0:1], v[0:1], v[26:27]
	v_mov_b32_e32 v33, v37
	v_mov_b32_e32 v86, v84
	;; [unrolled: 1-line block ×4, first 2 shown]
	v_pk_add_f32 v[0:1], v[0:1], v[32:33]
	v_pk_add_f32 v[76:77], v[76:77], v[86:87]
	;; [unrolled: 1-line block ×4, first 2 shown]
	global_store_dwordx2 v[4:5], v[0:1], off
	global_store_dwordx2 v[6:7], v[16:17], off
	;; [unrolled: 1-line block ×6, first 2 shown]
.LBB0_17:
	s_endpgm
	.section	.rodata,"a",@progbits
	.p2align	6, 0x0
	.amdhsa_kernel fft_rtc_fwd_len1573_factors_13_11_11_wgs_143_tpt_143_sp_op_CI_CI_sbrr_dirReg
		.amdhsa_group_segment_fixed_size 0
		.amdhsa_private_segment_fixed_size 0
		.amdhsa_kernarg_size 104
		.amdhsa_user_sgpr_count 2
		.amdhsa_user_sgpr_dispatch_ptr 0
		.amdhsa_user_sgpr_queue_ptr 0
		.amdhsa_user_sgpr_kernarg_segment_ptr 1
		.amdhsa_user_sgpr_dispatch_id 0
		.amdhsa_user_sgpr_kernarg_preload_length 0
		.amdhsa_user_sgpr_kernarg_preload_offset 0
		.amdhsa_user_sgpr_private_segment_size 0
		.amdhsa_uses_dynamic_stack 0
		.amdhsa_enable_private_segment 0
		.amdhsa_system_sgpr_workgroup_id_x 1
		.amdhsa_system_sgpr_workgroup_id_y 0
		.amdhsa_system_sgpr_workgroup_id_z 0
		.amdhsa_system_sgpr_workgroup_info 0
		.amdhsa_system_vgpr_workitem_id 0
		.amdhsa_next_free_vgpr 159
		.amdhsa_next_free_sgpr 42
		.amdhsa_accum_offset 160
		.amdhsa_reserve_vcc 1
		.amdhsa_float_round_mode_32 0
		.amdhsa_float_round_mode_16_64 0
		.amdhsa_float_denorm_mode_32 3
		.amdhsa_float_denorm_mode_16_64 3
		.amdhsa_dx10_clamp 1
		.amdhsa_ieee_mode 1
		.amdhsa_fp16_overflow 0
		.amdhsa_tg_split 0
		.amdhsa_exception_fp_ieee_invalid_op 0
		.amdhsa_exception_fp_denorm_src 0
		.amdhsa_exception_fp_ieee_div_zero 0
		.amdhsa_exception_fp_ieee_overflow 0
		.amdhsa_exception_fp_ieee_underflow 0
		.amdhsa_exception_fp_ieee_inexact 0
		.amdhsa_exception_int_div_zero 0
	.end_amdhsa_kernel
	.text
.Lfunc_end0:
	.size	fft_rtc_fwd_len1573_factors_13_11_11_wgs_143_tpt_143_sp_op_CI_CI_sbrr_dirReg, .Lfunc_end0-fft_rtc_fwd_len1573_factors_13_11_11_wgs_143_tpt_143_sp_op_CI_CI_sbrr_dirReg
                                        ; -- End function
	.section	.AMDGPU.csdata,"",@progbits
; Kernel info:
; codeLenInByte = 9148
; NumSgprs: 48
; NumVgprs: 159
; NumAgprs: 0
; TotalNumVgprs: 159
; ScratchSize: 0
; MemoryBound: 0
; FloatMode: 240
; IeeeMode: 1
; LDSByteSize: 0 bytes/workgroup (compile time only)
; SGPRBlocks: 5
; VGPRBlocks: 19
; NumSGPRsForWavesPerEU: 48
; NumVGPRsForWavesPerEU: 159
; AccumOffset: 160
; Occupancy: 3
; WaveLimiterHint : 1
; COMPUTE_PGM_RSRC2:SCRATCH_EN: 0
; COMPUTE_PGM_RSRC2:USER_SGPR: 2
; COMPUTE_PGM_RSRC2:TRAP_HANDLER: 0
; COMPUTE_PGM_RSRC2:TGID_X_EN: 1
; COMPUTE_PGM_RSRC2:TGID_Y_EN: 0
; COMPUTE_PGM_RSRC2:TGID_Z_EN: 0
; COMPUTE_PGM_RSRC2:TIDIG_COMP_CNT: 0
; COMPUTE_PGM_RSRC3_GFX90A:ACCUM_OFFSET: 39
; COMPUTE_PGM_RSRC3_GFX90A:TG_SPLIT: 0
	.text
	.p2alignl 6, 3212836864
	.fill 256, 4, 3212836864
	.type	__hip_cuid_e067b281cdf77dba,@object ; @__hip_cuid_e067b281cdf77dba
	.section	.bss,"aw",@nobits
	.globl	__hip_cuid_e067b281cdf77dba
__hip_cuid_e067b281cdf77dba:
	.byte	0                               ; 0x0
	.size	__hip_cuid_e067b281cdf77dba, 1

	.ident	"AMD clang version 19.0.0git (https://github.com/RadeonOpenCompute/llvm-project roc-6.4.0 25133 c7fe45cf4b819c5991fe208aaa96edf142730f1d)"
	.section	".note.GNU-stack","",@progbits
	.addrsig
	.addrsig_sym __hip_cuid_e067b281cdf77dba
	.amdgpu_metadata
---
amdhsa.kernels:
  - .agpr_count:     0
    .args:
      - .actual_access:  read_only
        .address_space:  global
        .offset:         0
        .size:           8
        .value_kind:     global_buffer
      - .offset:         8
        .size:           8
        .value_kind:     by_value
      - .actual_access:  read_only
        .address_space:  global
        .offset:         16
        .size:           8
        .value_kind:     global_buffer
      - .actual_access:  read_only
        .address_space:  global
        .offset:         24
        .size:           8
        .value_kind:     global_buffer
      - .actual_access:  read_only
        .address_space:  global
        .offset:         32
        .size:           8
        .value_kind:     global_buffer
      - .offset:         40
        .size:           8
        .value_kind:     by_value
      - .actual_access:  read_only
        .address_space:  global
        .offset:         48
        .size:           8
        .value_kind:     global_buffer
      - .actual_access:  read_only
        .address_space:  global
        .offset:         56
        .size:           8
        .value_kind:     global_buffer
      - .offset:         64
        .size:           4
        .value_kind:     by_value
      - .actual_access:  read_only
        .address_space:  global
        .offset:         72
        .size:           8
        .value_kind:     global_buffer
      - .actual_access:  read_only
        .address_space:  global
        .offset:         80
        .size:           8
        .value_kind:     global_buffer
      - .actual_access:  read_only
        .address_space:  global
        .offset:         88
        .size:           8
        .value_kind:     global_buffer
      - .actual_access:  write_only
        .address_space:  global
        .offset:         96
        .size:           8
        .value_kind:     global_buffer
    .group_segment_fixed_size: 0
    .kernarg_segment_align: 8
    .kernarg_segment_size: 104
    .language:       OpenCL C
    .language_version:
      - 2
      - 0
    .max_flat_workgroup_size: 143
    .name:           fft_rtc_fwd_len1573_factors_13_11_11_wgs_143_tpt_143_sp_op_CI_CI_sbrr_dirReg
    .private_segment_fixed_size: 0
    .sgpr_count:     48
    .sgpr_spill_count: 0
    .symbol:         fft_rtc_fwd_len1573_factors_13_11_11_wgs_143_tpt_143_sp_op_CI_CI_sbrr_dirReg.kd
    .uniform_work_group_size: 1
    .uses_dynamic_stack: false
    .vgpr_count:     159
    .vgpr_spill_count: 0
    .wavefront_size: 64
amdhsa.target:   amdgcn-amd-amdhsa--gfx950
amdhsa.version:
  - 1
  - 2
...

	.end_amdgpu_metadata
